;; amdgpu-corpus repo=ROCm/vllm kind=compiled arch=gfx906 opt=O3
	.amdgcn_target "amdgcn-amd-amdhsa--gfx906"
	.amdhsa_code_object_version 6
	.section	.text._ZN4vllm15rms_norm_kernelIfEEvPT_PKS1_lS4_fii,"axG",@progbits,_ZN4vllm15rms_norm_kernelIfEEvPT_PKS1_lS4_fii,comdat
	.protected	_ZN4vllm15rms_norm_kernelIfEEvPT_PKS1_lS4_fii ; -- Begin function _ZN4vllm15rms_norm_kernelIfEEvPT_PKS1_lS4_fii
	.globl	_ZN4vllm15rms_norm_kernelIfEEvPT_PKS1_lS4_fii
	.p2align	8
	.type	_ZN4vllm15rms_norm_kernelIfEEvPT_PKS1_lS4_fii,@function
_ZN4vllm15rms_norm_kernelIfEEvPT_PKS1_lS4_fii: ; @_ZN4vllm15rms_norm_kernelIfEEvPT_PKS1_lS4_fii
; %bb.0:
	s_load_dword s18, s[4:5], 0x28
	s_load_dwordx4 s[8:11], s[4:5], 0x8
                                        ; implicit-def: $sgpr7
	s_waitcnt lgkmcnt(0)
	v_cmp_gt_i32_e64 s[0:1], s18, v0
	v_cmp_le_i32_e32 vcc, s18, v0
	s_and_saveexec_b64 s[2:3], vcc
	s_xor_b64 s[2:3], exec, s[2:3]
	s_cbranch_execz .LBB0_2
; %bb.1:
	s_load_dword s7, s[4:5], 0x3c
	s_waitcnt lgkmcnt(0)
	s_and_b32 s7, s7, 0xffff
.LBB0_2:
	s_or_saveexec_b64 s[2:3], s[2:3]
	s_load_dwordx2 s[12:13], s[4:5], 0x0
	s_load_dwordx2 s[14:15], s[4:5], 0x18
	v_mov_b32_e32 v4, 0
	v_mov_b32_e32 v1, s6
	;; [unrolled: 1-line block ×3, first 2 shown]
	s_xor_b64 exec, exec, s[2:3]
	s_cbranch_execz .LBB0_6
; %bb.3:
	s_mul_i32 s7, s11, s6
	s_mul_hi_u32 s16, s10, s6
	s_add_i32 s17, s16, s7
	s_load_dword s7, s[4:5], 0x3c
	s_mul_i32 s16, s10, s6
	s_lshl_b64 s[16:17], s[16:17], 2
	s_add_u32 s19, s8, s16
	s_addc_u32 s20, s9, s17
	s_waitcnt lgkmcnt(0)
	s_and_b32 s7, s7, 0xffff
	v_mov_b32_e32 v4, 0
	s_mov_b64 s[16:17], 0
	v_mov_b32_e32 v3, s20
	v_mov_b32_e32 v1, v0
.LBB0_4:                                ; =>This Inner Loop Header: Depth=1
	v_ashrrev_i32_e32 v2, 31, v1
	v_lshlrev_b64 v[5:6], 2, v[1:2]
	v_add_u32_e32 v1, s7, v1
	v_add_co_u32_e32 v5, vcc, s19, v5
	v_addc_co_u32_e32 v6, vcc, v3, v6, vcc
	global_load_dword v2, v[5:6], off
	v_cmp_le_i32_e32 vcc, s18, v1
	s_or_b64 s[16:17], vcc, s[16:17]
	s_waitcnt vmcnt(0)
	v_fmac_f32_e32 v4, v2, v2
	s_andn2_b64 exec, exec, s[16:17]
	s_cbranch_execnz .LBB0_4
; %bb.5:
	s_or_b64 exec, exec, s[16:17]
	v_mov_b32_e32 v1, s6
	v_mov_b32_e32 v3, s7
.LBB0_6:
	s_or_b64 exec, exec, s[2:3]
	v_mbcnt_lo_u32_b32 v2, -1, 0
	v_mbcnt_hi_u32_b32 v2, -1, v2
	v_and_b32_e32 v5, 63, v2
	v_cmp_ne_u32_e32 vcc, 63, v5
	v_addc_co_u32_e32 v6, vcc, 0, v2, vcc
	v_lshlrev_b32_e32 v6, 2, v6
	ds_bpermute_b32 v6, v6, v4
	v_and_b32_e32 v7, 0x3c0, v0
	v_sub_u32_e64 v7, v3, v7 clamp
	v_add_u32_e32 v8, 1, v2
	v_cmp_lt_u32_e32 vcc, v8, v7
	s_waitcnt lgkmcnt(0)
	v_add_f32_e32 v6, v4, v6
	v_cndmask_b32_e32 v4, v4, v6, vcc
	v_cmp_gt_u32_e32 vcc, 62, v5
	v_cndmask_b32_e64 v6, 0, 2, vcc
	v_add_lshl_u32 v6, v6, v2, 2
	ds_bpermute_b32 v6, v6, v4
	v_add_u32_e32 v8, 2, v2
	v_cmp_lt_u32_e32 vcc, v8, v7
	v_add_u32_e32 v8, 4, v2
	s_waitcnt lgkmcnt(0)
	v_add_f32_e32 v6, v4, v6
	v_cndmask_b32_e32 v4, v4, v6, vcc
	v_cmp_gt_u32_e32 vcc, 60, v5
	v_cndmask_b32_e64 v6, 0, 4, vcc
	v_add_lshl_u32 v6, v6, v2, 2
	ds_bpermute_b32 v6, v6, v4
	v_cmp_lt_u32_e32 vcc, v8, v7
	v_add_u32_e32 v8, 8, v2
	s_waitcnt lgkmcnt(0)
	v_add_f32_e32 v6, v4, v6
	v_cndmask_b32_e32 v4, v4, v6, vcc
	v_cmp_gt_u32_e32 vcc, 56, v5
	v_cndmask_b32_e64 v6, 0, 8, vcc
	v_add_lshl_u32 v6, v6, v2, 2
	ds_bpermute_b32 v6, v6, v4
	;; [unrolled: 9-line block ×3, first 2 shown]
	v_add_u32_e32 v6, 16, v2
	v_cmp_lt_u32_e32 vcc, v6, v7
	s_waitcnt lgkmcnt(0)
	v_add_f32_e32 v5, v4, v5
	v_cndmask_b32_e32 v5, v4, v5, vcc
	v_lshlrev_b32_e32 v4, 2, v2
	v_or_b32_e32 v6, 0x80, v4
	ds_bpermute_b32 v6, v6, v5
	v_cmp_lt_u32_e32 vcc, v8, v7
	s_waitcnt lgkmcnt(0)
	v_add_f32_e32 v6, v5, v6
	v_cndmask_b32_e32 v5, v5, v6, vcc
	v_cmp_eq_u32_e32 vcc, 0, v2
	s_and_saveexec_b64 s[2:3], vcc
; %bb.7:
	v_lshrrev_b32_e32 v6, 4, v0
	v_and_b32_e32 v6, 60, v6
	ds_write_b32 v6, v5
; %bb.8:
	s_or_b64 exec, exec, s[2:3]
	v_cmp_gt_u32_e32 vcc, 16, v0
	s_waitcnt lgkmcnt(0)
	s_barrier
	s_and_saveexec_b64 s[6:7], vcc
	s_cbranch_execz .LBB0_10
; %bb.9:
	ds_read_b32 v5, v4
	v_and_b32_e32 v6, 15, v2
	v_cmp_ne_u32_e32 vcc, 15, v6
	v_addc_co_u32_e32 v7, vcc, 0, v2, vcc
	v_lshlrev_b32_e32 v7, 2, v7
	s_waitcnt lgkmcnt(0)
	ds_bpermute_b32 v7, v7, v5
	v_add_u32_e32 v8, 63, v3
	v_lshrrev_b32_e32 v8, 6, v8
	v_add_u32_e32 v9, 1, v6
	v_cmp_gt_u32_e64 s[2:3], 14, v6
	s_waitcnt lgkmcnt(0)
	v_add_f32_e32 v7, v5, v7
	v_cmp_lt_u32_e32 vcc, v9, v8
	v_cndmask_b32_e64 v9, 0, 2, s[2:3]
	v_cndmask_b32_e32 v7, v5, v7, vcc
	v_add_lshl_u32 v9, v9, v2, 2
	ds_bpermute_b32 v9, v9, v7
	v_add_u32_e32 v10, 2, v6
	v_cmp_lt_u32_e64 s[2:3], v10, v8
	v_or_b32_e32 v4, 32, v4
	s_waitcnt lgkmcnt(0)
	v_add_f32_e32 v9, v7, v9
	v_cndmask_b32_e64 v7, v7, v9, s[2:3]
	v_cmp_gt_u32_e64 s[2:3], 12, v6
	v_cndmask_b32_e64 v9, 0, 4, s[2:3]
	v_add_lshl_u32 v2, v9, v2, 2
	ds_bpermute_b32 v2, v2, v7
	v_add_u32_e32 v9, 4, v6
	v_cmp_lt_u32_e64 s[2:3], v9, v8
	v_add_u32_e32 v6, 8, v6
	s_waitcnt lgkmcnt(0)
	v_add_f32_e32 v2, v7, v2
	v_cndmask_b32_e64 v2, v7, v2, s[2:3]
	ds_bpermute_b32 v4, v4, v2
	v_cmp_lt_u32_e64 s[2:3], v6, v8
	s_waitcnt lgkmcnt(0)
	v_add_f32_e32 v4, v2, v4
	v_cndmask_b32_e64 v2, v2, v4, s[2:3]
	v_cndmask_b32_e32 v5, v5, v2, vcc
.LBB0_10:
	s_or_b64 exec, exec, s[6:7]
	v_cmp_eq_u32_e32 vcc, 0, v0
	s_and_saveexec_b64 s[2:3], vcc
	s_cbranch_execz .LBB0_12
; %bb.11:
	v_cvt_f32_i32_e32 v2, s18
	s_load_dword s4, s[4:5], 0x20
	s_mov_b32 s5, 0x800000
	v_div_scale_f32 v4, s[6:7], v2, v2, v5
	v_div_scale_f32 v6, vcc, v5, v2, v5
	v_rcp_f32_e32 v7, v4
	v_fma_f32 v8, -v4, v7, 1.0
	v_fmac_f32_e32 v7, v8, v7
	v_mul_f32_e32 v8, v6, v7
	v_fma_f32 v9, -v4, v8, v6
	v_fmac_f32_e32 v8, v9, v7
	v_fma_f32 v4, -v4, v8, v6
	v_div_fmas_f32 v4, v4, v7, v8
	v_div_fixup_f32 v2, v4, v2, v5
	s_waitcnt lgkmcnt(0)
	v_add_f32_e32 v2, s4, v2
	v_mul_f32_e32 v4, 0x4b800000, v2
	v_cmp_gt_f32_e32 vcc, s5, v2
	v_cndmask_b32_e32 v2, v2, v4, vcc
	v_rsq_f32_e32 v2, v2
	v_mul_f32_e32 v4, 0x45800000, v2
	v_cndmask_b32_e32 v2, v2, v4, vcc
	v_mov_b32_e32 v4, 0
	ds_write_b32 v4, v2 offset:64
.LBB0_12:
	s_or_b64 exec, exec, s[2:3]
	s_waitcnt lgkmcnt(0)
	s_barrier
	s_and_saveexec_b64 s[2:3], s[0:1]
	s_cbranch_execz .LBB0_15
; %bb.13:
	v_mad_u64_u32 v[4:5], s[0:1], s10, v1, 0
	v_mul_lo_u32 v7, s18, v1
	s_mov_b64 s[2:3], 0
	v_mov_b32_e32 v2, v5
	v_mad_u64_u32 v[5:6], s[0:1], s11, v1, v[2:3]
	v_mov_b32_e32 v6, s9
	v_mov_b32_e32 v2, 0
	v_lshlrev_b64 v[4:5], 2, v[4:5]
	v_mov_b32_e32 v8, s15
	v_add_co_u32_e32 v4, vcc, s8, v4
	v_addc_co_u32_e32 v5, vcc, v6, v5, vcc
	ds_read_b32 v6, v2 offset:64
	v_mov_b32_e32 v9, s13
.LBB0_14:                               ; =>This Inner Loop Header: Depth=1
	v_ashrrev_i32_e32 v1, 31, v0
	v_lshlrev_b64 v[10:11], 2, v[0:1]
	v_add_u32_e32 v1, v7, v0
	v_add_co_u32_e32 v12, vcc, v4, v10
	v_addc_co_u32_e32 v13, vcc, v5, v11, vcc
	v_add_co_u32_e32 v10, vcc, s14, v10
	global_load_dword v12, v[12:13], off
	v_addc_co_u32_e32 v11, vcc, v8, v11, vcc
	global_load_dword v13, v[10:11], off
	v_lshlrev_b64 v[10:11], 2, v[1:2]
	v_add_u32_e32 v0, v0, v3
	v_cmp_le_i32_e32 vcc, s18, v0
	v_add_co_u32_e64 v10, s[0:1], s12, v10
	v_addc_co_u32_e64 v11, s[0:1], v9, v11, s[0:1]
	s_or_b64 s[2:3], vcc, s[2:3]
	s_waitcnt vmcnt(1) lgkmcnt(0)
	v_mul_f32_e32 v1, v12, v6
	s_waitcnt vmcnt(0)
	v_mul_f32_e32 v1, v1, v13
	global_store_dword v[10:11], v1, off
	s_andn2_b64 exec, exec, s[2:3]
	s_cbranch_execnz .LBB0_14
.LBB0_15:
	s_endpgm
	.section	.rodata,"a",@progbits
	.p2align	6, 0x0
	.amdhsa_kernel _ZN4vllm15rms_norm_kernelIfEEvPT_PKS1_lS4_fii
		.amdhsa_group_segment_fixed_size 68
		.amdhsa_private_segment_fixed_size 0
		.amdhsa_kernarg_size 304
		.amdhsa_user_sgpr_count 6
		.amdhsa_user_sgpr_private_segment_buffer 1
		.amdhsa_user_sgpr_dispatch_ptr 0
		.amdhsa_user_sgpr_queue_ptr 0
		.amdhsa_user_sgpr_kernarg_segment_ptr 1
		.amdhsa_user_sgpr_dispatch_id 0
		.amdhsa_user_sgpr_flat_scratch_init 0
		.amdhsa_user_sgpr_private_segment_size 0
		.amdhsa_uses_dynamic_stack 0
		.amdhsa_system_sgpr_private_segment_wavefront_offset 0
		.amdhsa_system_sgpr_workgroup_id_x 1
		.amdhsa_system_sgpr_workgroup_id_y 0
		.amdhsa_system_sgpr_workgroup_id_z 0
		.amdhsa_system_sgpr_workgroup_info 0
		.amdhsa_system_vgpr_workitem_id 0
		.amdhsa_next_free_vgpr 14
		.amdhsa_next_free_sgpr 21
		.amdhsa_reserve_vcc 1
		.amdhsa_reserve_flat_scratch 0
		.amdhsa_float_round_mode_32 0
		.amdhsa_float_round_mode_16_64 0
		.amdhsa_float_denorm_mode_32 3
		.amdhsa_float_denorm_mode_16_64 3
		.amdhsa_dx10_clamp 1
		.amdhsa_ieee_mode 1
		.amdhsa_fp16_overflow 0
		.amdhsa_exception_fp_ieee_invalid_op 0
		.amdhsa_exception_fp_denorm_src 0
		.amdhsa_exception_fp_ieee_div_zero 0
		.amdhsa_exception_fp_ieee_overflow 0
		.amdhsa_exception_fp_ieee_underflow 0
		.amdhsa_exception_fp_ieee_inexact 0
		.amdhsa_exception_int_div_zero 0
	.end_amdhsa_kernel
	.section	.text._ZN4vllm15rms_norm_kernelIfEEvPT_PKS1_lS4_fii,"axG",@progbits,_ZN4vllm15rms_norm_kernelIfEEvPT_PKS1_lS4_fii,comdat
.Lfunc_end0:
	.size	_ZN4vllm15rms_norm_kernelIfEEvPT_PKS1_lS4_fii, .Lfunc_end0-_ZN4vllm15rms_norm_kernelIfEEvPT_PKS1_lS4_fii
                                        ; -- End function
	.set _ZN4vllm15rms_norm_kernelIfEEvPT_PKS1_lS4_fii.num_vgpr, 14
	.set _ZN4vllm15rms_norm_kernelIfEEvPT_PKS1_lS4_fii.num_agpr, 0
	.set _ZN4vllm15rms_norm_kernelIfEEvPT_PKS1_lS4_fii.numbered_sgpr, 21
	.set _ZN4vllm15rms_norm_kernelIfEEvPT_PKS1_lS4_fii.num_named_barrier, 0
	.set _ZN4vllm15rms_norm_kernelIfEEvPT_PKS1_lS4_fii.private_seg_size, 0
	.set _ZN4vllm15rms_norm_kernelIfEEvPT_PKS1_lS4_fii.uses_vcc, 1
	.set _ZN4vllm15rms_norm_kernelIfEEvPT_PKS1_lS4_fii.uses_flat_scratch, 0
	.set _ZN4vllm15rms_norm_kernelIfEEvPT_PKS1_lS4_fii.has_dyn_sized_stack, 0
	.set _ZN4vllm15rms_norm_kernelIfEEvPT_PKS1_lS4_fii.has_recursion, 0
	.set _ZN4vllm15rms_norm_kernelIfEEvPT_PKS1_lS4_fii.has_indirect_call, 0
	.section	.AMDGPU.csdata,"",@progbits
; Kernel info:
; codeLenInByte = 1196
; TotalNumSgprs: 25
; NumVgprs: 14
; ScratchSize: 0
; MemoryBound: 0
; FloatMode: 240
; IeeeMode: 1
; LDSByteSize: 68 bytes/workgroup (compile time only)
; SGPRBlocks: 3
; VGPRBlocks: 3
; NumSGPRsForWavesPerEU: 25
; NumVGPRsForWavesPerEU: 14
; Occupancy: 10
; WaveLimiterHint : 0
; COMPUTE_PGM_RSRC2:SCRATCH_EN: 0
; COMPUTE_PGM_RSRC2:USER_SGPR: 6
; COMPUTE_PGM_RSRC2:TRAP_HANDLER: 0
; COMPUTE_PGM_RSRC2:TGID_X_EN: 1
; COMPUTE_PGM_RSRC2:TGID_Y_EN: 0
; COMPUTE_PGM_RSRC2:TGID_Z_EN: 0
; COMPUTE_PGM_RSRC2:TIDIG_COMP_CNT: 0
	.section	.text._ZN4vllm15rms_norm_kernelIN3c104HalfEEEvPT_PKS3_lS6_fii,"axG",@progbits,_ZN4vllm15rms_norm_kernelIN3c104HalfEEEvPT_PKS3_lS6_fii,comdat
	.protected	_ZN4vllm15rms_norm_kernelIN3c104HalfEEEvPT_PKS3_lS6_fii ; -- Begin function _ZN4vllm15rms_norm_kernelIN3c104HalfEEEvPT_PKS3_lS6_fii
	.globl	_ZN4vllm15rms_norm_kernelIN3c104HalfEEEvPT_PKS3_lS6_fii
	.p2align	8
	.type	_ZN4vllm15rms_norm_kernelIN3c104HalfEEEvPT_PKS3_lS6_fii,@function
_ZN4vllm15rms_norm_kernelIN3c104HalfEEEvPT_PKS3_lS6_fii: ; @_ZN4vllm15rms_norm_kernelIN3c104HalfEEEvPT_PKS3_lS6_fii
; %bb.0:
	s_load_dword s18, s[4:5], 0x28
	s_load_dwordx4 s[8:11], s[4:5], 0x8
                                        ; implicit-def: $sgpr7
	s_waitcnt lgkmcnt(0)
	v_cmp_gt_i32_e64 s[0:1], s18, v0
	v_cmp_le_i32_e32 vcc, s18, v0
	s_and_saveexec_b64 s[2:3], vcc
	s_xor_b64 s[2:3], exec, s[2:3]
	s_cbranch_execz .LBB1_2
; %bb.1:
	s_load_dword s7, s[4:5], 0x3c
	s_waitcnt lgkmcnt(0)
	s_and_b32 s7, s7, 0xffff
.LBB1_2:
	s_or_saveexec_b64 s[2:3], s[2:3]
	s_load_dwordx2 s[12:13], s[4:5], 0x0
	s_load_dwordx2 s[14:15], s[4:5], 0x18
	v_mov_b32_e32 v4, 0
	v_mov_b32_e32 v1, s6
	;; [unrolled: 1-line block ×3, first 2 shown]
	s_xor_b64 exec, exec, s[2:3]
	s_cbranch_execz .LBB1_6
; %bb.3:
	s_mul_i32 s7, s11, s6
	s_mul_hi_u32 s16, s10, s6
	s_add_i32 s17, s16, s7
	s_load_dword s7, s[4:5], 0x3c
	s_mul_i32 s16, s10, s6
	s_lshl_b64 s[16:17], s[16:17], 1
	s_add_u32 s19, s8, s16
	s_addc_u32 s20, s9, s17
	s_waitcnt lgkmcnt(0)
	s_and_b32 s7, s7, 0xffff
	v_mov_b32_e32 v4, 0
	s_mov_b64 s[16:17], 0
	v_mov_b32_e32 v3, s20
	v_mov_b32_e32 v1, v0
.LBB1_4:                                ; =>This Inner Loop Header: Depth=1
	v_ashrrev_i32_e32 v2, 31, v1
	v_lshlrev_b64 v[5:6], 1, v[1:2]
	v_add_u32_e32 v1, s7, v1
	v_add_co_u32_e32 v5, vcc, s19, v5
	v_addc_co_u32_e32 v6, vcc, v3, v6, vcc
	global_load_ushort v2, v[5:6], off
	v_cmp_le_i32_e32 vcc, s18, v1
	s_or_b64 s[16:17], vcc, s[16:17]
	s_waitcnt vmcnt(0)
	v_fma_mix_f32 v4, v2, v2, v4 op_sel_hi:[1,1,0]
	s_andn2_b64 exec, exec, s[16:17]
	s_cbranch_execnz .LBB1_4
; %bb.5:
	s_or_b64 exec, exec, s[16:17]
	v_mov_b32_e32 v1, s6
	v_mov_b32_e32 v3, s7
.LBB1_6:
	s_or_b64 exec, exec, s[2:3]
	v_mbcnt_lo_u32_b32 v2, -1, 0
	v_mbcnt_hi_u32_b32 v2, -1, v2
	v_and_b32_e32 v5, 63, v2
	v_cmp_ne_u32_e32 vcc, 63, v5
	v_addc_co_u32_e32 v6, vcc, 0, v2, vcc
	v_lshlrev_b32_e32 v6, 2, v6
	ds_bpermute_b32 v6, v6, v4
	v_and_b32_e32 v7, 0x3c0, v0
	v_sub_u32_e64 v7, v3, v7 clamp
	v_add_u32_e32 v8, 1, v2
	v_cmp_lt_u32_e32 vcc, v8, v7
	s_waitcnt lgkmcnt(0)
	v_add_f32_e32 v6, v4, v6
	v_cndmask_b32_e32 v4, v4, v6, vcc
	v_cmp_gt_u32_e32 vcc, 62, v5
	v_cndmask_b32_e64 v6, 0, 2, vcc
	v_add_lshl_u32 v6, v6, v2, 2
	ds_bpermute_b32 v6, v6, v4
	v_add_u32_e32 v8, 2, v2
	v_cmp_lt_u32_e32 vcc, v8, v7
	v_add_u32_e32 v8, 4, v2
	s_waitcnt lgkmcnt(0)
	v_add_f32_e32 v6, v4, v6
	v_cndmask_b32_e32 v4, v4, v6, vcc
	v_cmp_gt_u32_e32 vcc, 60, v5
	v_cndmask_b32_e64 v6, 0, 4, vcc
	v_add_lshl_u32 v6, v6, v2, 2
	ds_bpermute_b32 v6, v6, v4
	v_cmp_lt_u32_e32 vcc, v8, v7
	v_add_u32_e32 v8, 8, v2
	s_waitcnt lgkmcnt(0)
	v_add_f32_e32 v6, v4, v6
	v_cndmask_b32_e32 v4, v4, v6, vcc
	v_cmp_gt_u32_e32 vcc, 56, v5
	v_cndmask_b32_e64 v6, 0, 8, vcc
	v_add_lshl_u32 v6, v6, v2, 2
	ds_bpermute_b32 v6, v6, v4
	;; [unrolled: 9-line block ×3, first 2 shown]
	v_add_u32_e32 v6, 16, v2
	v_cmp_lt_u32_e32 vcc, v6, v7
	s_waitcnt lgkmcnt(0)
	v_add_f32_e32 v5, v4, v5
	v_cndmask_b32_e32 v5, v4, v5, vcc
	v_lshlrev_b32_e32 v4, 2, v2
	v_or_b32_e32 v6, 0x80, v4
	ds_bpermute_b32 v6, v6, v5
	v_cmp_lt_u32_e32 vcc, v8, v7
	s_waitcnt lgkmcnt(0)
	v_add_f32_e32 v6, v5, v6
	v_cndmask_b32_e32 v5, v5, v6, vcc
	v_cmp_eq_u32_e32 vcc, 0, v2
	s_and_saveexec_b64 s[2:3], vcc
; %bb.7:
	v_lshrrev_b32_e32 v6, 4, v0
	v_and_b32_e32 v6, 60, v6
	ds_write_b32 v6, v5
; %bb.8:
	s_or_b64 exec, exec, s[2:3]
	v_cmp_gt_u32_e32 vcc, 16, v0
	s_waitcnt lgkmcnt(0)
	s_barrier
	s_and_saveexec_b64 s[6:7], vcc
	s_cbranch_execz .LBB1_10
; %bb.9:
	ds_read_b32 v5, v4
	v_and_b32_e32 v6, 15, v2
	v_cmp_ne_u32_e32 vcc, 15, v6
	v_addc_co_u32_e32 v7, vcc, 0, v2, vcc
	v_lshlrev_b32_e32 v7, 2, v7
	s_waitcnt lgkmcnt(0)
	ds_bpermute_b32 v7, v7, v5
	v_add_u32_e32 v8, 63, v3
	v_lshrrev_b32_e32 v8, 6, v8
	v_add_u32_e32 v9, 1, v6
	v_cmp_gt_u32_e64 s[2:3], 14, v6
	s_waitcnt lgkmcnt(0)
	v_add_f32_e32 v7, v5, v7
	v_cmp_lt_u32_e32 vcc, v9, v8
	v_cndmask_b32_e64 v9, 0, 2, s[2:3]
	v_cndmask_b32_e32 v7, v5, v7, vcc
	v_add_lshl_u32 v9, v9, v2, 2
	ds_bpermute_b32 v9, v9, v7
	v_add_u32_e32 v10, 2, v6
	v_cmp_lt_u32_e64 s[2:3], v10, v8
	v_or_b32_e32 v4, 32, v4
	s_waitcnt lgkmcnt(0)
	v_add_f32_e32 v9, v7, v9
	v_cndmask_b32_e64 v7, v7, v9, s[2:3]
	v_cmp_gt_u32_e64 s[2:3], 12, v6
	v_cndmask_b32_e64 v9, 0, 4, s[2:3]
	v_add_lshl_u32 v2, v9, v2, 2
	ds_bpermute_b32 v2, v2, v7
	v_add_u32_e32 v9, 4, v6
	v_cmp_lt_u32_e64 s[2:3], v9, v8
	v_add_u32_e32 v6, 8, v6
	s_waitcnt lgkmcnt(0)
	v_add_f32_e32 v2, v7, v2
	v_cndmask_b32_e64 v2, v7, v2, s[2:3]
	ds_bpermute_b32 v4, v4, v2
	v_cmp_lt_u32_e64 s[2:3], v6, v8
	s_waitcnt lgkmcnt(0)
	v_add_f32_e32 v4, v2, v4
	v_cndmask_b32_e64 v2, v2, v4, s[2:3]
	v_cndmask_b32_e32 v5, v5, v2, vcc
.LBB1_10:
	s_or_b64 exec, exec, s[6:7]
	v_cmp_eq_u32_e32 vcc, 0, v0
	s_and_saveexec_b64 s[2:3], vcc
	s_cbranch_execz .LBB1_12
; %bb.11:
	v_cvt_f32_i32_e32 v2, s18
	s_load_dword s4, s[4:5], 0x20
	s_mov_b32 s5, 0x800000
	v_div_scale_f32 v4, s[6:7], v2, v2, v5
	v_div_scale_f32 v6, vcc, v5, v2, v5
	v_rcp_f32_e32 v7, v4
	v_fma_f32 v8, -v4, v7, 1.0
	v_fmac_f32_e32 v7, v8, v7
	v_mul_f32_e32 v8, v6, v7
	v_fma_f32 v9, -v4, v8, v6
	v_fmac_f32_e32 v8, v9, v7
	v_fma_f32 v4, -v4, v8, v6
	v_div_fmas_f32 v4, v4, v7, v8
	v_div_fixup_f32 v2, v4, v2, v5
	s_waitcnt lgkmcnt(0)
	v_add_f32_e32 v2, s4, v2
	v_mul_f32_e32 v4, 0x4b800000, v2
	v_cmp_gt_f32_e32 vcc, s5, v2
	v_cndmask_b32_e32 v2, v2, v4, vcc
	v_rsq_f32_e32 v2, v2
	v_mul_f32_e32 v4, 0x45800000, v2
	v_cndmask_b32_e32 v2, v2, v4, vcc
	v_mov_b32_e32 v4, 0
	ds_write_b32 v4, v2 offset:64
.LBB1_12:
	s_or_b64 exec, exec, s[2:3]
	s_waitcnt lgkmcnt(0)
	s_barrier
	s_and_saveexec_b64 s[2:3], s[0:1]
	s_cbranch_execz .LBB1_15
; %bb.13:
	v_mad_u64_u32 v[4:5], s[0:1], s10, v1, 0
	v_mul_lo_u32 v7, s18, v1
	s_mov_b64 s[2:3], 0
	v_mov_b32_e32 v2, v5
	v_mad_u64_u32 v[5:6], s[0:1], s11, v1, v[2:3]
	v_mov_b32_e32 v6, s9
	v_mov_b32_e32 v2, 0
	v_lshlrev_b64 v[4:5], 1, v[4:5]
	v_mov_b32_e32 v8, s15
	v_add_co_u32_e32 v4, vcc, s8, v4
	v_addc_co_u32_e32 v5, vcc, v6, v5, vcc
	ds_read_b32 v6, v2 offset:64
	v_mov_b32_e32 v9, s13
.LBB1_14:                               ; =>This Inner Loop Header: Depth=1
	v_ashrrev_i32_e32 v1, 31, v0
	v_lshlrev_b64 v[10:11], 1, v[0:1]
	v_add_u32_e32 v1, v7, v0
	v_add_co_u32_e32 v12, vcc, v4, v10
	v_addc_co_u32_e32 v13, vcc, v5, v11, vcc
	v_add_co_u32_e32 v10, vcc, s14, v10
	global_load_ushort v12, v[12:13], off
	v_addc_co_u32_e32 v11, vcc, v8, v11, vcc
	global_load_ushort v13, v[10:11], off
	v_lshlrev_b64 v[10:11], 1, v[1:2]
	v_add_u32_e32 v0, v0, v3
	v_cmp_le_i32_e32 vcc, s18, v0
	v_add_co_u32_e64 v10, s[0:1], s12, v10
	v_addc_co_u32_e64 v11, s[0:1], v9, v11, s[0:1]
	s_or_b64 s[2:3], vcc, s[2:3]
	s_waitcnt vmcnt(1) lgkmcnt(0)
	v_fma_mixlo_f16 v1, v6, v12, 0 op_sel_hi:[0,1,0]
	s_waitcnt vmcnt(0)
	v_mul_f16_e32 v1, v13, v1
	global_store_short v[10:11], v1, off
	s_andn2_b64 exec, exec, s[2:3]
	s_cbranch_execnz .LBB1_14
.LBB1_15:
	s_endpgm
	.section	.rodata,"a",@progbits
	.p2align	6, 0x0
	.amdhsa_kernel _ZN4vllm15rms_norm_kernelIN3c104HalfEEEvPT_PKS3_lS6_fii
		.amdhsa_group_segment_fixed_size 68
		.amdhsa_private_segment_fixed_size 0
		.amdhsa_kernarg_size 304
		.amdhsa_user_sgpr_count 6
		.amdhsa_user_sgpr_private_segment_buffer 1
		.amdhsa_user_sgpr_dispatch_ptr 0
		.amdhsa_user_sgpr_queue_ptr 0
		.amdhsa_user_sgpr_kernarg_segment_ptr 1
		.amdhsa_user_sgpr_dispatch_id 0
		.amdhsa_user_sgpr_flat_scratch_init 0
		.amdhsa_user_sgpr_private_segment_size 0
		.amdhsa_uses_dynamic_stack 0
		.amdhsa_system_sgpr_private_segment_wavefront_offset 0
		.amdhsa_system_sgpr_workgroup_id_x 1
		.amdhsa_system_sgpr_workgroup_id_y 0
		.amdhsa_system_sgpr_workgroup_id_z 0
		.amdhsa_system_sgpr_workgroup_info 0
		.amdhsa_system_vgpr_workitem_id 0
		.amdhsa_next_free_vgpr 14
		.amdhsa_next_free_sgpr 21
		.amdhsa_reserve_vcc 1
		.amdhsa_reserve_flat_scratch 0
		.amdhsa_float_round_mode_32 0
		.amdhsa_float_round_mode_16_64 0
		.amdhsa_float_denorm_mode_32 3
		.amdhsa_float_denorm_mode_16_64 3
		.amdhsa_dx10_clamp 1
		.amdhsa_ieee_mode 1
		.amdhsa_fp16_overflow 0
		.amdhsa_exception_fp_ieee_invalid_op 0
		.amdhsa_exception_fp_denorm_src 0
		.amdhsa_exception_fp_ieee_div_zero 0
		.amdhsa_exception_fp_ieee_overflow 0
		.amdhsa_exception_fp_ieee_underflow 0
		.amdhsa_exception_fp_ieee_inexact 0
		.amdhsa_exception_int_div_zero 0
	.end_amdhsa_kernel
	.section	.text._ZN4vllm15rms_norm_kernelIN3c104HalfEEEvPT_PKS3_lS6_fii,"axG",@progbits,_ZN4vllm15rms_norm_kernelIN3c104HalfEEEvPT_PKS3_lS6_fii,comdat
.Lfunc_end1:
	.size	_ZN4vllm15rms_norm_kernelIN3c104HalfEEEvPT_PKS3_lS6_fii, .Lfunc_end1-_ZN4vllm15rms_norm_kernelIN3c104HalfEEEvPT_PKS3_lS6_fii
                                        ; -- End function
	.set _ZN4vllm15rms_norm_kernelIN3c104HalfEEEvPT_PKS3_lS6_fii.num_vgpr, 14
	.set _ZN4vllm15rms_norm_kernelIN3c104HalfEEEvPT_PKS3_lS6_fii.num_agpr, 0
	.set _ZN4vllm15rms_norm_kernelIN3c104HalfEEEvPT_PKS3_lS6_fii.numbered_sgpr, 21
	.set _ZN4vllm15rms_norm_kernelIN3c104HalfEEEvPT_PKS3_lS6_fii.num_named_barrier, 0
	.set _ZN4vllm15rms_norm_kernelIN3c104HalfEEEvPT_PKS3_lS6_fii.private_seg_size, 0
	.set _ZN4vllm15rms_norm_kernelIN3c104HalfEEEvPT_PKS3_lS6_fii.uses_vcc, 1
	.set _ZN4vllm15rms_norm_kernelIN3c104HalfEEEvPT_PKS3_lS6_fii.uses_flat_scratch, 0
	.set _ZN4vllm15rms_norm_kernelIN3c104HalfEEEvPT_PKS3_lS6_fii.has_dyn_sized_stack, 0
	.set _ZN4vllm15rms_norm_kernelIN3c104HalfEEEvPT_PKS3_lS6_fii.has_recursion, 0
	.set _ZN4vllm15rms_norm_kernelIN3c104HalfEEEvPT_PKS3_lS6_fii.has_indirect_call, 0
	.section	.AMDGPU.csdata,"",@progbits
; Kernel info:
; codeLenInByte = 1204
; TotalNumSgprs: 25
; NumVgprs: 14
; ScratchSize: 0
; MemoryBound: 0
; FloatMode: 240
; IeeeMode: 1
; LDSByteSize: 68 bytes/workgroup (compile time only)
; SGPRBlocks: 3
; VGPRBlocks: 3
; NumSGPRsForWavesPerEU: 25
; NumVGPRsForWavesPerEU: 14
; Occupancy: 10
; WaveLimiterHint : 0
; COMPUTE_PGM_RSRC2:SCRATCH_EN: 0
; COMPUTE_PGM_RSRC2:USER_SGPR: 6
; COMPUTE_PGM_RSRC2:TRAP_HANDLER: 0
; COMPUTE_PGM_RSRC2:TGID_X_EN: 1
; COMPUTE_PGM_RSRC2:TGID_Y_EN: 0
; COMPUTE_PGM_RSRC2:TGID_Z_EN: 0
; COMPUTE_PGM_RSRC2:TIDIG_COMP_CNT: 0
	.section	.text._ZN4vllm15rms_norm_kernelIN3c108BFloat16EEEvPT_PKS3_lS6_fii,"axG",@progbits,_ZN4vllm15rms_norm_kernelIN3c108BFloat16EEEvPT_PKS3_lS6_fii,comdat
	.protected	_ZN4vllm15rms_norm_kernelIN3c108BFloat16EEEvPT_PKS3_lS6_fii ; -- Begin function _ZN4vllm15rms_norm_kernelIN3c108BFloat16EEEvPT_PKS3_lS6_fii
	.globl	_ZN4vllm15rms_norm_kernelIN3c108BFloat16EEEvPT_PKS3_lS6_fii
	.p2align	8
	.type	_ZN4vllm15rms_norm_kernelIN3c108BFloat16EEEvPT_PKS3_lS6_fii,@function
_ZN4vllm15rms_norm_kernelIN3c108BFloat16EEEvPT_PKS3_lS6_fii: ; @_ZN4vllm15rms_norm_kernelIN3c108BFloat16EEEvPT_PKS3_lS6_fii
; %bb.0:
	s_load_dword s18, s[4:5], 0x28
	s_load_dwordx4 s[8:11], s[4:5], 0x8
                                        ; implicit-def: $sgpr7
	s_waitcnt lgkmcnt(0)
	v_cmp_gt_i32_e64 s[0:1], s18, v0
	v_cmp_le_i32_e32 vcc, s18, v0
	s_and_saveexec_b64 s[2:3], vcc
	s_xor_b64 s[2:3], exec, s[2:3]
	s_cbranch_execz .LBB2_2
; %bb.1:
	s_load_dword s7, s[4:5], 0x3c
	s_waitcnt lgkmcnt(0)
	s_and_b32 s7, s7, 0xffff
.LBB2_2:
	s_or_saveexec_b64 s[2:3], s[2:3]
	s_load_dwordx2 s[12:13], s[4:5], 0x0
	s_load_dwordx2 s[14:15], s[4:5], 0x18
	v_mov_b32_e32 v4, 0
	v_mov_b32_e32 v1, s6
	;; [unrolled: 1-line block ×3, first 2 shown]
	s_xor_b64 exec, exec, s[2:3]
	s_cbranch_execz .LBB2_6
; %bb.3:
	s_mul_i32 s7, s11, s6
	s_mul_hi_u32 s16, s10, s6
	s_add_i32 s17, s16, s7
	s_load_dword s7, s[4:5], 0x3c
	s_mul_i32 s16, s10, s6
	s_lshl_b64 s[16:17], s[16:17], 1
	s_add_u32 s19, s8, s16
	s_addc_u32 s20, s9, s17
	s_waitcnt lgkmcnt(0)
	s_and_b32 s7, s7, 0xffff
	v_mov_b32_e32 v4, 0
	s_mov_b64 s[16:17], 0
	v_mov_b32_e32 v3, s20
	v_mov_b32_e32 v1, v0
.LBB2_4:                                ; =>This Inner Loop Header: Depth=1
	v_ashrrev_i32_e32 v2, 31, v1
	v_lshlrev_b64 v[5:6], 1, v[1:2]
	v_add_u32_e32 v1, s7, v1
	v_add_co_u32_e32 v5, vcc, s19, v5
	v_addc_co_u32_e32 v6, vcc, v3, v6, vcc
	global_load_ushort v2, v[5:6], off
	v_cmp_le_i32_e32 vcc, s18, v1
	s_or_b64 s[16:17], vcc, s[16:17]
	s_waitcnt vmcnt(0)
	v_lshlrev_b32_e32 v2, 16, v2
	v_fmac_f32_e32 v4, v2, v2
	s_andn2_b64 exec, exec, s[16:17]
	s_cbranch_execnz .LBB2_4
; %bb.5:
	s_or_b64 exec, exec, s[16:17]
	v_mov_b32_e32 v1, s6
	v_mov_b32_e32 v3, s7
.LBB2_6:
	s_or_b64 exec, exec, s[2:3]
	v_mbcnt_lo_u32_b32 v2, -1, 0
	v_mbcnt_hi_u32_b32 v2, -1, v2
	v_and_b32_e32 v5, 63, v2
	v_cmp_ne_u32_e32 vcc, 63, v5
	v_addc_co_u32_e32 v6, vcc, 0, v2, vcc
	v_lshlrev_b32_e32 v6, 2, v6
	ds_bpermute_b32 v6, v6, v4
	v_and_b32_e32 v7, 0x3c0, v0
	v_sub_u32_e64 v7, v3, v7 clamp
	v_add_u32_e32 v8, 1, v2
	v_cmp_lt_u32_e32 vcc, v8, v7
	s_waitcnt lgkmcnt(0)
	v_add_f32_e32 v6, v4, v6
	v_cndmask_b32_e32 v4, v4, v6, vcc
	v_cmp_gt_u32_e32 vcc, 62, v5
	v_cndmask_b32_e64 v6, 0, 2, vcc
	v_add_lshl_u32 v6, v6, v2, 2
	ds_bpermute_b32 v6, v6, v4
	v_add_u32_e32 v8, 2, v2
	v_cmp_lt_u32_e32 vcc, v8, v7
	v_add_u32_e32 v8, 4, v2
	s_waitcnt lgkmcnt(0)
	v_add_f32_e32 v6, v4, v6
	v_cndmask_b32_e32 v4, v4, v6, vcc
	v_cmp_gt_u32_e32 vcc, 60, v5
	v_cndmask_b32_e64 v6, 0, 4, vcc
	v_add_lshl_u32 v6, v6, v2, 2
	ds_bpermute_b32 v6, v6, v4
	v_cmp_lt_u32_e32 vcc, v8, v7
	v_add_u32_e32 v8, 8, v2
	s_waitcnt lgkmcnt(0)
	v_add_f32_e32 v6, v4, v6
	v_cndmask_b32_e32 v4, v4, v6, vcc
	v_cmp_gt_u32_e32 vcc, 56, v5
	v_cndmask_b32_e64 v6, 0, 8, vcc
	v_add_lshl_u32 v6, v6, v2, 2
	ds_bpermute_b32 v6, v6, v4
	v_cmp_lt_u32_e32 vcc, v8, v7
	v_add_u32_e32 v8, 32, v2
	s_waitcnt lgkmcnt(0)
	v_add_f32_e32 v6, v4, v6
	v_cndmask_b32_e32 v4, v4, v6, vcc
	v_cmp_gt_u32_e32 vcc, 48, v5
	v_cndmask_b32_e64 v5, 0, 16, vcc
	v_add_lshl_u32 v5, v5, v2, 2
	ds_bpermute_b32 v5, v5, v4
	v_add_u32_e32 v6, 16, v2
	v_cmp_lt_u32_e32 vcc, v6, v7
	s_waitcnt lgkmcnt(0)
	v_add_f32_e32 v5, v4, v5
	v_cndmask_b32_e32 v5, v4, v5, vcc
	v_lshlrev_b32_e32 v4, 2, v2
	v_or_b32_e32 v6, 0x80, v4
	ds_bpermute_b32 v6, v6, v5
	v_cmp_lt_u32_e32 vcc, v8, v7
	s_waitcnt lgkmcnt(0)
	v_add_f32_e32 v6, v5, v6
	v_cndmask_b32_e32 v5, v5, v6, vcc
	v_cmp_eq_u32_e32 vcc, 0, v2
	s_and_saveexec_b64 s[2:3], vcc
; %bb.7:
	v_lshrrev_b32_e32 v6, 4, v0
	v_and_b32_e32 v6, 60, v6
	ds_write_b32 v6, v5
; %bb.8:
	s_or_b64 exec, exec, s[2:3]
	v_cmp_gt_u32_e32 vcc, 16, v0
	s_waitcnt lgkmcnt(0)
	s_barrier
	s_and_saveexec_b64 s[6:7], vcc
	s_cbranch_execz .LBB2_10
; %bb.9:
	ds_read_b32 v5, v4
	v_and_b32_e32 v6, 15, v2
	v_cmp_ne_u32_e32 vcc, 15, v6
	v_addc_co_u32_e32 v7, vcc, 0, v2, vcc
	v_lshlrev_b32_e32 v7, 2, v7
	s_waitcnt lgkmcnt(0)
	ds_bpermute_b32 v7, v7, v5
	v_add_u32_e32 v8, 63, v3
	v_lshrrev_b32_e32 v8, 6, v8
	v_add_u32_e32 v9, 1, v6
	v_cmp_gt_u32_e64 s[2:3], 14, v6
	s_waitcnt lgkmcnt(0)
	v_add_f32_e32 v7, v5, v7
	v_cmp_lt_u32_e32 vcc, v9, v8
	v_cndmask_b32_e64 v9, 0, 2, s[2:3]
	v_cndmask_b32_e32 v7, v5, v7, vcc
	v_add_lshl_u32 v9, v9, v2, 2
	ds_bpermute_b32 v9, v9, v7
	v_add_u32_e32 v10, 2, v6
	v_cmp_lt_u32_e64 s[2:3], v10, v8
	v_or_b32_e32 v4, 32, v4
	s_waitcnt lgkmcnt(0)
	v_add_f32_e32 v9, v7, v9
	v_cndmask_b32_e64 v7, v7, v9, s[2:3]
	v_cmp_gt_u32_e64 s[2:3], 12, v6
	v_cndmask_b32_e64 v9, 0, 4, s[2:3]
	v_add_lshl_u32 v2, v9, v2, 2
	ds_bpermute_b32 v2, v2, v7
	v_add_u32_e32 v9, 4, v6
	v_cmp_lt_u32_e64 s[2:3], v9, v8
	v_add_u32_e32 v6, 8, v6
	s_waitcnt lgkmcnt(0)
	v_add_f32_e32 v2, v7, v2
	v_cndmask_b32_e64 v2, v7, v2, s[2:3]
	ds_bpermute_b32 v4, v4, v2
	v_cmp_lt_u32_e64 s[2:3], v6, v8
	s_waitcnt lgkmcnt(0)
	v_add_f32_e32 v4, v2, v4
	v_cndmask_b32_e64 v2, v2, v4, s[2:3]
	v_cndmask_b32_e32 v5, v5, v2, vcc
.LBB2_10:
	s_or_b64 exec, exec, s[6:7]
	v_cmp_eq_u32_e32 vcc, 0, v0
	s_and_saveexec_b64 s[2:3], vcc
	s_cbranch_execz .LBB2_12
; %bb.11:
	v_cvt_f32_i32_e32 v2, s18
	s_load_dword s4, s[4:5], 0x20
	s_mov_b32 s5, 0x800000
	v_div_scale_f32 v4, s[6:7], v2, v2, v5
	v_div_scale_f32 v6, vcc, v5, v2, v5
	v_rcp_f32_e32 v7, v4
	v_fma_f32 v8, -v4, v7, 1.0
	v_fmac_f32_e32 v7, v8, v7
	v_mul_f32_e32 v8, v6, v7
	v_fma_f32 v9, -v4, v8, v6
	v_fmac_f32_e32 v8, v9, v7
	v_fma_f32 v4, -v4, v8, v6
	v_div_fmas_f32 v4, v4, v7, v8
	v_div_fixup_f32 v2, v4, v2, v5
	s_waitcnt lgkmcnt(0)
	v_add_f32_e32 v2, s4, v2
	v_mul_f32_e32 v4, 0x4b800000, v2
	v_cmp_gt_f32_e32 vcc, s5, v2
	v_cndmask_b32_e32 v2, v2, v4, vcc
	v_rsq_f32_e32 v2, v2
	v_mul_f32_e32 v4, 0x45800000, v2
	v_cndmask_b32_e32 v2, v2, v4, vcc
	v_mov_b32_e32 v4, 0
	ds_write_b32 v4, v2 offset:64
.LBB2_12:
	s_or_b64 exec, exec, s[2:3]
	s_waitcnt lgkmcnt(0)
	s_barrier
	s_and_saveexec_b64 s[2:3], s[0:1]
	s_cbranch_execz .LBB2_15
; %bb.13:
	v_mad_u64_u32 v[4:5], s[0:1], s10, v1, 0
	v_mul_lo_u32 v7, s18, v1
	s_mov_b64 s[2:3], 0
	v_mov_b32_e32 v2, v5
	v_mad_u64_u32 v[5:6], s[0:1], s11, v1, v[2:3]
	v_mov_b32_e32 v6, s9
	v_mov_b32_e32 v2, 0
	v_lshlrev_b64 v[4:5], 1, v[4:5]
	s_movk_i32 s4, 0x7fff
	v_add_co_u32_e32 v4, vcc, s8, v4
	v_addc_co_u32_e32 v5, vcc, v6, v5, vcc
	ds_read_b32 v6, v2 offset:64
	v_mov_b32_e32 v8, s15
	v_mov_b32_e32 v9, 0x7fc00000
	v_mov_b32_e32 v10, 0x7fc0
	v_mov_b32_e32 v11, s13
.LBB2_14:                               ; =>This Inner Loop Header: Depth=1
	v_ashrrev_i32_e32 v1, 31, v0
	v_lshlrev_b64 v[12:13], 1, v[0:1]
	v_add_u32_e32 v1, v7, v0
	v_add_co_u32_e32 v14, vcc, v4, v12
	v_addc_co_u32_e32 v15, vcc, v5, v13, vcc
	global_load_ushort v14, v[14:15], off
	v_add_co_u32_e32 v12, vcc, s14, v12
	v_addc_co_u32_e32 v13, vcc, v8, v13, vcc
	global_load_ushort v15, v[12:13], off
	v_lshlrev_b64 v[12:13], 1, v[1:2]
	v_add_u32_e32 v0, v0, v3
	v_add_co_u32_e64 v12, s[0:1], s12, v12
	v_addc_co_u32_e64 v13, s[0:1], v11, v13, s[0:1]
	v_cmp_le_i32_e32 vcc, s18, v0
	s_or_b64 s[2:3], vcc, s[2:3]
	s_waitcnt vmcnt(1)
	v_lshlrev_b32_e32 v1, 16, v14
	s_waitcnt lgkmcnt(0)
	v_mul_f32_e32 v1, v6, v1
	v_cmp_o_f32_e64 s[0:1], v1, v1
	s_waitcnt vmcnt(0)
	v_lshlrev_b32_e32 v14, 16, v15
	v_bfe_u32 v15, v1, 16, 1
	v_add3_u32 v15, v1, v15, s4
	v_and_b32_e32 v15, 0xffff0000, v15
	v_cndmask_b32_e64 v1, v9, v15, s[0:1]
	v_mul_f32_e32 v1, v1, v14
	v_bfe_u32 v14, v1, 16, 1
	v_add3_u32 v14, v1, v14, s4
	v_lshrrev_b32_e32 v14, 16, v14
	v_cmp_o_f32_e64 s[0:1], v1, v1
	v_cndmask_b32_e64 v1, v10, v14, s[0:1]
	global_store_short v[12:13], v1, off
	s_andn2_b64 exec, exec, s[2:3]
	s_cbranch_execnz .LBB2_14
.LBB2_15:
	s_endpgm
	.section	.rodata,"a",@progbits
	.p2align	6, 0x0
	.amdhsa_kernel _ZN4vllm15rms_norm_kernelIN3c108BFloat16EEEvPT_PKS3_lS6_fii
		.amdhsa_group_segment_fixed_size 68
		.amdhsa_private_segment_fixed_size 0
		.amdhsa_kernarg_size 304
		.amdhsa_user_sgpr_count 6
		.amdhsa_user_sgpr_private_segment_buffer 1
		.amdhsa_user_sgpr_dispatch_ptr 0
		.amdhsa_user_sgpr_queue_ptr 0
		.amdhsa_user_sgpr_kernarg_segment_ptr 1
		.amdhsa_user_sgpr_dispatch_id 0
		.amdhsa_user_sgpr_flat_scratch_init 0
		.amdhsa_user_sgpr_private_segment_size 0
		.amdhsa_uses_dynamic_stack 0
		.amdhsa_system_sgpr_private_segment_wavefront_offset 0
		.amdhsa_system_sgpr_workgroup_id_x 1
		.amdhsa_system_sgpr_workgroup_id_y 0
		.amdhsa_system_sgpr_workgroup_id_z 0
		.amdhsa_system_sgpr_workgroup_info 0
		.amdhsa_system_vgpr_workitem_id 0
		.amdhsa_next_free_vgpr 16
		.amdhsa_next_free_sgpr 21
		.amdhsa_reserve_vcc 1
		.amdhsa_reserve_flat_scratch 0
		.amdhsa_float_round_mode_32 0
		.amdhsa_float_round_mode_16_64 0
		.amdhsa_float_denorm_mode_32 3
		.amdhsa_float_denorm_mode_16_64 3
		.amdhsa_dx10_clamp 1
		.amdhsa_ieee_mode 1
		.amdhsa_fp16_overflow 0
		.amdhsa_exception_fp_ieee_invalid_op 0
		.amdhsa_exception_fp_denorm_src 0
		.amdhsa_exception_fp_ieee_div_zero 0
		.amdhsa_exception_fp_ieee_overflow 0
		.amdhsa_exception_fp_ieee_underflow 0
		.amdhsa_exception_fp_ieee_inexact 0
		.amdhsa_exception_int_div_zero 0
	.end_amdhsa_kernel
	.section	.text._ZN4vllm15rms_norm_kernelIN3c108BFloat16EEEvPT_PKS3_lS6_fii,"axG",@progbits,_ZN4vllm15rms_norm_kernelIN3c108BFloat16EEEvPT_PKS3_lS6_fii,comdat
.Lfunc_end2:
	.size	_ZN4vllm15rms_norm_kernelIN3c108BFloat16EEEvPT_PKS3_lS6_fii, .Lfunc_end2-_ZN4vllm15rms_norm_kernelIN3c108BFloat16EEEvPT_PKS3_lS6_fii
                                        ; -- End function
	.set _ZN4vllm15rms_norm_kernelIN3c108BFloat16EEEvPT_PKS3_lS6_fii.num_vgpr, 16
	.set _ZN4vllm15rms_norm_kernelIN3c108BFloat16EEEvPT_PKS3_lS6_fii.num_agpr, 0
	.set _ZN4vllm15rms_norm_kernelIN3c108BFloat16EEEvPT_PKS3_lS6_fii.numbered_sgpr, 21
	.set _ZN4vllm15rms_norm_kernelIN3c108BFloat16EEEvPT_PKS3_lS6_fii.num_named_barrier, 0
	.set _ZN4vllm15rms_norm_kernelIN3c108BFloat16EEEvPT_PKS3_lS6_fii.private_seg_size, 0
	.set _ZN4vllm15rms_norm_kernelIN3c108BFloat16EEEvPT_PKS3_lS6_fii.uses_vcc, 1
	.set _ZN4vllm15rms_norm_kernelIN3c108BFloat16EEEvPT_PKS3_lS6_fii.uses_flat_scratch, 0
	.set _ZN4vllm15rms_norm_kernelIN3c108BFloat16EEEvPT_PKS3_lS6_fii.has_dyn_sized_stack, 0
	.set _ZN4vllm15rms_norm_kernelIN3c108BFloat16EEEvPT_PKS3_lS6_fii.has_recursion, 0
	.set _ZN4vllm15rms_norm_kernelIN3c108BFloat16EEEvPT_PKS3_lS6_fii.has_indirect_call, 0
	.section	.AMDGPU.csdata,"",@progbits
; Kernel info:
; codeLenInByte = 1308
; TotalNumSgprs: 25
; NumVgprs: 16
; ScratchSize: 0
; MemoryBound: 0
; FloatMode: 240
; IeeeMode: 1
; LDSByteSize: 68 bytes/workgroup (compile time only)
; SGPRBlocks: 3
; VGPRBlocks: 3
; NumSGPRsForWavesPerEU: 25
; NumVGPRsForWavesPerEU: 16
; Occupancy: 10
; WaveLimiterHint : 0
; COMPUTE_PGM_RSRC2:SCRATCH_EN: 0
; COMPUTE_PGM_RSRC2:USER_SGPR: 6
; COMPUTE_PGM_RSRC2:TRAP_HANDLER: 0
; COMPUTE_PGM_RSRC2:TGID_X_EN: 1
; COMPUTE_PGM_RSRC2:TGID_Y_EN: 0
; COMPUTE_PGM_RSRC2:TGID_Z_EN: 0
; COMPUTE_PGM_RSRC2:TIDIG_COMP_CNT: 0
	.section	.text._ZN4vllm25fused_add_rms_norm_kernelIfLi8EEENSt9enable_ifIXooeqT0_Li0Entsr12_typeConvertIT_EE6existsEvE4typeEPS2_lS5_PKS2_fii,"axG",@progbits,_ZN4vllm25fused_add_rms_norm_kernelIfLi8EEENSt9enable_ifIXooeqT0_Li0Entsr12_typeConvertIT_EE6existsEvE4typeEPS2_lS5_PKS2_fii,comdat
	.protected	_ZN4vllm25fused_add_rms_norm_kernelIfLi8EEENSt9enable_ifIXooeqT0_Li0Entsr12_typeConvertIT_EE6existsEvE4typeEPS2_lS5_PKS2_fii ; -- Begin function _ZN4vllm25fused_add_rms_norm_kernelIfLi8EEENSt9enable_ifIXooeqT0_Li0Entsr12_typeConvertIT_EE6existsEvE4typeEPS2_lS5_PKS2_fii
	.globl	_ZN4vllm25fused_add_rms_norm_kernelIfLi8EEENSt9enable_ifIXooeqT0_Li0Entsr12_typeConvertIT_EE6existsEvE4typeEPS2_lS5_PKS2_fii
	.p2align	8
	.type	_ZN4vllm25fused_add_rms_norm_kernelIfLi8EEENSt9enable_ifIXooeqT0_Li0Entsr12_typeConvertIT_EE6existsEvE4typeEPS2_lS5_PKS2_fii,@function
_ZN4vllm25fused_add_rms_norm_kernelIfLi8EEENSt9enable_ifIXooeqT0_Li0Entsr12_typeConvertIT_EE6existsEvE4typeEPS2_lS5_PKS2_fii: ; @_ZN4vllm25fused_add_rms_norm_kernelIfLi8EEENSt9enable_ifIXooeqT0_Li0Entsr12_typeConvertIT_EE6existsEvE4typeEPS2_lS5_PKS2_fii
; %bb.0:
	s_load_dword s18, s[4:5], 0x28
	s_load_dwordx4 s[8:11], s[4:5], 0x0
	s_load_dwordx2 s[12:13], s[4:5], 0x10
                                        ; implicit-def: $sgpr7
	s_waitcnt lgkmcnt(0)
	v_cmp_gt_i32_e64 s[0:1], s18, v0
	v_cmp_le_i32_e32 vcc, s18, v0
	s_and_saveexec_b64 s[2:3], vcc
	s_xor_b64 s[2:3], exec, s[2:3]
	s_cbranch_execz .LBB3_2
; %bb.1:
	s_load_dword s7, s[4:5], 0x3c
	s_waitcnt lgkmcnt(0)
	s_and_b32 s7, s7, 0xffff
.LBB3_2:
	s_or_saveexec_b64 s[2:3], s[2:3]
	s_load_dwordx2 s[14:15], s[4:5], 0x18
	v_mov_b32_e32 v5, 0
	v_mov_b32_e32 v1, s6
	;; [unrolled: 1-line block ×3, first 2 shown]
	s_xor_b64 exec, exec, s[2:3]
	s_cbranch_execz .LBB3_6
; %bb.3:
	s_mul_i32 s7, s11, s6
	s_mul_hi_u32 s16, s10, s6
	s_add_i32 s17, s16, s7
	s_load_dword s7, s[4:5], 0x3c
	s_mul_i32 s16, s10, s6
	s_lshl_b64 s[16:17], s[16:17], 2
	s_add_u32 s19, s8, s16
	s_addc_u32 s21, s9, s17
	s_mul_i32 s20, s18, s6
	s_waitcnt lgkmcnt(0)
	s_and_b32 s7, s7, 0xffff
	v_mov_b32_e32 v2, 0
	s_mov_b64 s[16:17], 0
	v_mov_b32_e32 v6, s21
	v_mov_b32_e32 v7, s13
	;; [unrolled: 1-line block ×4, first 2 shown]
.LBB3_4:                                ; =>This Inner Loop Header: Depth=1
	v_ashrrev_i32_e32 v4, 31, v3
	v_lshlrev_b64 v[8:9], 2, v[3:4]
	v_add_u32_e32 v1, s20, v3
	v_add_co_u32_e32 v8, vcc, s19, v8
	v_addc_co_u32_e32 v9, vcc, v6, v9, vcc
	global_load_dword v4, v[8:9], off
	v_lshlrev_b64 v[8:9], 2, v[1:2]
	v_add_u32_e32 v3, s7, v3
	v_add_co_u32_e32 v8, vcc, s12, v8
	v_addc_co_u32_e32 v9, vcc, v7, v9, vcc
	global_load_dword v1, v[8:9], off
	v_cmp_le_i32_e32 vcc, s18, v3
	s_or_b64 s[16:17], vcc, s[16:17]
	s_waitcnt vmcnt(0)
	v_add_f32_e32 v1, v4, v1
	v_fmac_f32_e32 v5, v1, v1
	global_store_dword v[8:9], v1, off
	s_andn2_b64 exec, exec, s[16:17]
	s_cbranch_execnz .LBB3_4
; %bb.5:
	s_or_b64 exec, exec, s[16:17]
	v_mov_b32_e32 v1, s6
	v_mov_b32_e32 v4, s7
.LBB3_6:
	s_or_b64 exec, exec, s[2:3]
	v_mbcnt_lo_u32_b32 v2, -1, 0
	v_mbcnt_hi_u32_b32 v2, -1, v2
	v_and_b32_e32 v3, 63, v2
	v_cmp_ne_u32_e32 vcc, 63, v3
	v_addc_co_u32_e32 v6, vcc, 0, v2, vcc
	v_lshlrev_b32_e32 v6, 2, v6
	ds_bpermute_b32 v6, v6, v5
	v_and_b32_e32 v7, 0x3c0, v0
	v_sub_u32_e64 v7, v4, v7 clamp
	v_add_u32_e32 v8, 1, v2
	v_cmp_lt_u32_e32 vcc, v8, v7
	s_waitcnt lgkmcnt(0)
	v_add_f32_e32 v6, v5, v6
	v_cndmask_b32_e32 v5, v5, v6, vcc
	v_cmp_gt_u32_e32 vcc, 62, v3
	v_cndmask_b32_e64 v6, 0, 2, vcc
	v_add_lshl_u32 v6, v6, v2, 2
	ds_bpermute_b32 v6, v6, v5
	v_add_u32_e32 v8, 2, v2
	v_cmp_lt_u32_e32 vcc, v8, v7
	v_add_u32_e32 v8, 4, v2
	s_waitcnt lgkmcnt(0)
	v_add_f32_e32 v6, v5, v6
	v_cndmask_b32_e32 v5, v5, v6, vcc
	v_cmp_gt_u32_e32 vcc, 60, v3
	v_cndmask_b32_e64 v6, 0, 4, vcc
	v_add_lshl_u32 v6, v6, v2, 2
	ds_bpermute_b32 v6, v6, v5
	v_cmp_lt_u32_e32 vcc, v8, v7
	v_add_u32_e32 v8, 8, v2
	s_waitcnt lgkmcnt(0)
	v_add_f32_e32 v6, v5, v6
	v_cndmask_b32_e32 v5, v5, v6, vcc
	v_cmp_gt_u32_e32 vcc, 56, v3
	v_cndmask_b32_e64 v6, 0, 8, vcc
	v_add_lshl_u32 v6, v6, v2, 2
	ds_bpermute_b32 v6, v6, v5
	;; [unrolled: 9-line block ×3, first 2 shown]
	v_add_u32_e32 v6, 16, v2
	v_cmp_lt_u32_e32 vcc, v6, v7
	s_waitcnt lgkmcnt(0)
	v_add_f32_e32 v3, v5, v3
	v_cndmask_b32_e32 v5, v5, v3, vcc
	v_lshlrev_b32_e32 v3, 2, v2
	v_or_b32_e32 v6, 0x80, v3
	ds_bpermute_b32 v6, v6, v5
	v_cmp_lt_u32_e32 vcc, v8, v7
	s_waitcnt lgkmcnt(0)
	v_add_f32_e32 v6, v5, v6
	v_cndmask_b32_e32 v5, v5, v6, vcc
	v_cmp_eq_u32_e32 vcc, 0, v2
	s_and_saveexec_b64 s[2:3], vcc
; %bb.7:
	v_lshrrev_b32_e32 v6, 4, v0
	v_and_b32_e32 v6, 60, v6
	ds_write_b32 v6, v5
; %bb.8:
	s_or_b64 exec, exec, s[2:3]
	v_cmp_gt_u32_e32 vcc, 16, v0
	s_waitcnt vmcnt(0) lgkmcnt(0)
	s_barrier
	s_and_saveexec_b64 s[6:7], vcc
	s_cbranch_execz .LBB3_10
; %bb.9:
	ds_read_b32 v5, v3
	v_and_b32_e32 v6, 15, v2
	v_cmp_ne_u32_e32 vcc, 15, v6
	v_addc_co_u32_e32 v7, vcc, 0, v2, vcc
	v_lshlrev_b32_e32 v7, 2, v7
	s_waitcnt lgkmcnt(0)
	ds_bpermute_b32 v7, v7, v5
	v_add_u32_e32 v8, 63, v4
	v_lshrrev_b32_e32 v8, 6, v8
	v_add_u32_e32 v9, 1, v6
	v_cmp_gt_u32_e64 s[2:3], 14, v6
	s_waitcnt lgkmcnt(0)
	v_add_f32_e32 v7, v5, v7
	v_cmp_lt_u32_e32 vcc, v9, v8
	v_cndmask_b32_e64 v9, 0, 2, s[2:3]
	v_cndmask_b32_e32 v7, v5, v7, vcc
	v_add_lshl_u32 v9, v9, v2, 2
	ds_bpermute_b32 v9, v9, v7
	v_add_u32_e32 v10, 2, v6
	v_cmp_lt_u32_e64 s[2:3], v10, v8
	v_or_b32_e32 v3, 32, v3
	s_waitcnt lgkmcnt(0)
	v_add_f32_e32 v9, v7, v9
	v_cndmask_b32_e64 v7, v7, v9, s[2:3]
	v_cmp_gt_u32_e64 s[2:3], 12, v6
	v_cndmask_b32_e64 v9, 0, 4, s[2:3]
	v_add_lshl_u32 v2, v9, v2, 2
	ds_bpermute_b32 v2, v2, v7
	v_add_u32_e32 v9, 4, v6
	v_cmp_lt_u32_e64 s[2:3], v9, v8
	v_add_u32_e32 v6, 8, v6
	s_waitcnt lgkmcnt(0)
	v_add_f32_e32 v2, v7, v2
	v_cndmask_b32_e64 v2, v7, v2, s[2:3]
	ds_bpermute_b32 v3, v3, v2
	v_cmp_lt_u32_e64 s[2:3], v6, v8
	s_waitcnt lgkmcnt(0)
	v_add_f32_e32 v3, v2, v3
	v_cndmask_b32_e64 v2, v2, v3, s[2:3]
	v_cndmask_b32_e32 v5, v5, v2, vcc
.LBB3_10:
	s_or_b64 exec, exec, s[6:7]
	v_cmp_eq_u32_e32 vcc, 0, v0
	s_and_saveexec_b64 s[2:3], vcc
	s_cbranch_execz .LBB3_12
; %bb.11:
	v_cvt_f32_i32_e32 v2, s18
	s_load_dword s4, s[4:5], 0x20
	s_mov_b32 s5, 0x800000
	v_div_scale_f32 v3, s[6:7], v2, v2, v5
	v_div_scale_f32 v6, vcc, v5, v2, v5
	v_rcp_f32_e32 v7, v3
	v_fma_f32 v8, -v3, v7, 1.0
	v_fmac_f32_e32 v7, v8, v7
	v_mul_f32_e32 v8, v6, v7
	v_fma_f32 v9, -v3, v8, v6
	v_fmac_f32_e32 v8, v9, v7
	v_fma_f32 v3, -v3, v8, v6
	v_div_fmas_f32 v3, v3, v7, v8
	v_div_fixup_f32 v2, v3, v2, v5
	s_waitcnt lgkmcnt(0)
	v_add_f32_e32 v2, s4, v2
	v_mul_f32_e32 v3, 0x4b800000, v2
	v_cmp_gt_f32_e32 vcc, s5, v2
	v_cndmask_b32_e32 v2, v2, v3, vcc
	v_rsq_f32_e32 v2, v2
	v_mul_f32_e32 v3, 0x45800000, v2
	v_cndmask_b32_e32 v2, v2, v3, vcc
	v_mov_b32_e32 v3, 0
	ds_write_b32 v3, v2 offset:64
.LBB3_12:
	s_or_b64 exec, exec, s[2:3]
	s_waitcnt lgkmcnt(0)
	s_barrier
	s_and_saveexec_b64 s[2:3], s[0:1]
	s_cbranch_execz .LBB3_15
; %bb.13:
	v_mad_u64_u32 v[7:8], s[0:1], s10, v1, 0
	v_mul_lo_u32 v5, s18, v1
	v_mov_b32_e32 v9, s9
	v_mov_b32_e32 v2, v8
	v_mad_u64_u32 v[1:2], s[0:1], s11, v1, v[2:3]
	v_mov_b32_e32 v3, 0
	ds_read_b32 v6, v3 offset:64
	v_mov_b32_e32 v8, v1
	v_lshlrev_b64 v[1:2], 2, v[7:8]
	s_mov_b64 s[2:3], 0
	v_add_co_u32_e32 v7, vcc, s8, v1
	v_addc_co_u32_e32 v8, vcc, v9, v2, vcc
	v_mov_b32_e32 v9, s13
	v_mov_b32_e32 v10, s15
.LBB3_14:                               ; =>This Inner Loop Header: Depth=1
	v_add_u32_e32 v2, v5, v0
	v_lshlrev_b64 v[11:12], 2, v[2:3]
	v_ashrrev_i32_e32 v1, 31, v0
	v_lshlrev_b64 v[1:2], 2, v[0:1]
	v_add_co_u32_e32 v11, vcc, s12, v11
	v_addc_co_u32_e32 v12, vcc, v9, v12, vcc
	v_add_co_u32_e32 v13, vcc, s14, v1
	v_addc_co_u32_e32 v14, vcc, v10, v2, vcc
	global_load_dword v15, v[11:12], off
	global_load_dword v16, v[13:14], off
	v_add_u32_e32 v0, v0, v4
	v_cmp_le_i32_e32 vcc, s18, v0
	v_add_co_u32_e64 v1, s[0:1], v7, v1
	v_addc_co_u32_e64 v2, s[0:1], v8, v2, s[0:1]
	s_or_b64 s[2:3], vcc, s[2:3]
	s_waitcnt vmcnt(1) lgkmcnt(0)
	v_mul_f32_e32 v11, v15, v6
	s_waitcnt vmcnt(0)
	v_mul_f32_e32 v11, v11, v16
	global_store_dword v[1:2], v11, off
	s_andn2_b64 exec, exec, s[2:3]
	s_cbranch_execnz .LBB3_14
.LBB3_15:
	s_endpgm
	.section	.rodata,"a",@progbits
	.p2align	6, 0x0
	.amdhsa_kernel _ZN4vllm25fused_add_rms_norm_kernelIfLi8EEENSt9enable_ifIXooeqT0_Li0Entsr12_typeConvertIT_EE6existsEvE4typeEPS2_lS5_PKS2_fii
		.amdhsa_group_segment_fixed_size 68
		.amdhsa_private_segment_fixed_size 0
		.amdhsa_kernarg_size 304
		.amdhsa_user_sgpr_count 6
		.amdhsa_user_sgpr_private_segment_buffer 1
		.amdhsa_user_sgpr_dispatch_ptr 0
		.amdhsa_user_sgpr_queue_ptr 0
		.amdhsa_user_sgpr_kernarg_segment_ptr 1
		.amdhsa_user_sgpr_dispatch_id 0
		.amdhsa_user_sgpr_flat_scratch_init 0
		.amdhsa_user_sgpr_private_segment_size 0
		.amdhsa_uses_dynamic_stack 0
		.amdhsa_system_sgpr_private_segment_wavefront_offset 0
		.amdhsa_system_sgpr_workgroup_id_x 1
		.amdhsa_system_sgpr_workgroup_id_y 0
		.amdhsa_system_sgpr_workgroup_id_z 0
		.amdhsa_system_sgpr_workgroup_info 0
		.amdhsa_system_vgpr_workitem_id 0
		.amdhsa_next_free_vgpr 17
		.amdhsa_next_free_sgpr 22
		.amdhsa_reserve_vcc 1
		.amdhsa_reserve_flat_scratch 0
		.amdhsa_float_round_mode_32 0
		.amdhsa_float_round_mode_16_64 0
		.amdhsa_float_denorm_mode_32 3
		.amdhsa_float_denorm_mode_16_64 3
		.amdhsa_dx10_clamp 1
		.amdhsa_ieee_mode 1
		.amdhsa_fp16_overflow 0
		.amdhsa_exception_fp_ieee_invalid_op 0
		.amdhsa_exception_fp_denorm_src 0
		.amdhsa_exception_fp_ieee_div_zero 0
		.amdhsa_exception_fp_ieee_overflow 0
		.amdhsa_exception_fp_ieee_underflow 0
		.amdhsa_exception_fp_ieee_inexact 0
		.amdhsa_exception_int_div_zero 0
	.end_amdhsa_kernel
	.section	.text._ZN4vllm25fused_add_rms_norm_kernelIfLi8EEENSt9enable_ifIXooeqT0_Li0Entsr12_typeConvertIT_EE6existsEvE4typeEPS2_lS5_PKS2_fii,"axG",@progbits,_ZN4vllm25fused_add_rms_norm_kernelIfLi8EEENSt9enable_ifIXooeqT0_Li0Entsr12_typeConvertIT_EE6existsEvE4typeEPS2_lS5_PKS2_fii,comdat
.Lfunc_end3:
	.size	_ZN4vllm25fused_add_rms_norm_kernelIfLi8EEENSt9enable_ifIXooeqT0_Li0Entsr12_typeConvertIT_EE6existsEvE4typeEPS2_lS5_PKS2_fii, .Lfunc_end3-_ZN4vllm25fused_add_rms_norm_kernelIfLi8EEENSt9enable_ifIXooeqT0_Li0Entsr12_typeConvertIT_EE6existsEvE4typeEPS2_lS5_PKS2_fii
                                        ; -- End function
	.set _ZN4vllm25fused_add_rms_norm_kernelIfLi8EEENSt9enable_ifIXooeqT0_Li0Entsr12_typeConvertIT_EE6existsEvE4typeEPS2_lS5_PKS2_fii.num_vgpr, 17
	.set _ZN4vllm25fused_add_rms_norm_kernelIfLi8EEENSt9enable_ifIXooeqT0_Li0Entsr12_typeConvertIT_EE6existsEvE4typeEPS2_lS5_PKS2_fii.num_agpr, 0
	.set _ZN4vllm25fused_add_rms_norm_kernelIfLi8EEENSt9enable_ifIXooeqT0_Li0Entsr12_typeConvertIT_EE6existsEvE4typeEPS2_lS5_PKS2_fii.numbered_sgpr, 22
	.set _ZN4vllm25fused_add_rms_norm_kernelIfLi8EEENSt9enable_ifIXooeqT0_Li0Entsr12_typeConvertIT_EE6existsEvE4typeEPS2_lS5_PKS2_fii.num_named_barrier, 0
	.set _ZN4vllm25fused_add_rms_norm_kernelIfLi8EEENSt9enable_ifIXooeqT0_Li0Entsr12_typeConvertIT_EE6existsEvE4typeEPS2_lS5_PKS2_fii.private_seg_size, 0
	.set _ZN4vllm25fused_add_rms_norm_kernelIfLi8EEENSt9enable_ifIXooeqT0_Li0Entsr12_typeConvertIT_EE6existsEvE4typeEPS2_lS5_PKS2_fii.uses_vcc, 1
	.set _ZN4vllm25fused_add_rms_norm_kernelIfLi8EEENSt9enable_ifIXooeqT0_Li0Entsr12_typeConvertIT_EE6existsEvE4typeEPS2_lS5_PKS2_fii.uses_flat_scratch, 0
	.set _ZN4vllm25fused_add_rms_norm_kernelIfLi8EEENSt9enable_ifIXooeqT0_Li0Entsr12_typeConvertIT_EE6existsEvE4typeEPS2_lS5_PKS2_fii.has_dyn_sized_stack, 0
	.set _ZN4vllm25fused_add_rms_norm_kernelIfLi8EEENSt9enable_ifIXooeqT0_Li0Entsr12_typeConvertIT_EE6existsEvE4typeEPS2_lS5_PKS2_fii.has_recursion, 0
	.set _ZN4vllm25fused_add_rms_norm_kernelIfLi8EEENSt9enable_ifIXooeqT0_Li0Entsr12_typeConvertIT_EE6existsEvE4typeEPS2_lS5_PKS2_fii.has_indirect_call, 0
	.section	.AMDGPU.csdata,"",@progbits
; Kernel info:
; codeLenInByte = 1252
; TotalNumSgprs: 26
; NumVgprs: 17
; ScratchSize: 0
; MemoryBound: 0
; FloatMode: 240
; IeeeMode: 1
; LDSByteSize: 68 bytes/workgroup (compile time only)
; SGPRBlocks: 3
; VGPRBlocks: 4
; NumSGPRsForWavesPerEU: 26
; NumVGPRsForWavesPerEU: 17
; Occupancy: 10
; WaveLimiterHint : 0
; COMPUTE_PGM_RSRC2:SCRATCH_EN: 0
; COMPUTE_PGM_RSRC2:USER_SGPR: 6
; COMPUTE_PGM_RSRC2:TRAP_HANDLER: 0
; COMPUTE_PGM_RSRC2:TGID_X_EN: 1
; COMPUTE_PGM_RSRC2:TGID_Y_EN: 0
; COMPUTE_PGM_RSRC2:TGID_Z_EN: 0
; COMPUTE_PGM_RSRC2:TIDIG_COMP_CNT: 0
	.section	.text._ZN4vllm25fused_add_rms_norm_kernelIN3c104HalfELi8EEENSt9enable_ifIXaagtT0_Li0Esr12_typeConvertIT_EE6existsEvE4typeEPS4_lS7_PKS4_fii,"axG",@progbits,_ZN4vllm25fused_add_rms_norm_kernelIN3c104HalfELi8EEENSt9enable_ifIXaagtT0_Li0Esr12_typeConvertIT_EE6existsEvE4typeEPS4_lS7_PKS4_fii,comdat
	.protected	_ZN4vllm25fused_add_rms_norm_kernelIN3c104HalfELi8EEENSt9enable_ifIXaagtT0_Li0Esr12_typeConvertIT_EE6existsEvE4typeEPS4_lS7_PKS4_fii ; -- Begin function _ZN4vllm25fused_add_rms_norm_kernelIN3c104HalfELi8EEENSt9enable_ifIXaagtT0_Li0Esr12_typeConvertIT_EE6existsEvE4typeEPS4_lS7_PKS4_fii
	.globl	_ZN4vllm25fused_add_rms_norm_kernelIN3c104HalfELi8EEENSt9enable_ifIXaagtT0_Li0Esr12_typeConvertIT_EE6existsEvE4typeEPS4_lS7_PKS4_fii
	.p2align	8
	.type	_ZN4vllm25fused_add_rms_norm_kernelIN3c104HalfELi8EEENSt9enable_ifIXaagtT0_Li0Esr12_typeConvertIT_EE6existsEvE4typeEPS4_lS7_PKS4_fii,@function
_ZN4vllm25fused_add_rms_norm_kernelIN3c104HalfELi8EEENSt9enable_ifIXaagtT0_Li0Esr12_typeConvertIT_EE6existsEvE4typeEPS4_lS7_PKS4_fii: ; @_ZN4vllm25fused_add_rms_norm_kernelIN3c104HalfELi8EEENSt9enable_ifIXaagtT0_Li0Esr12_typeConvertIT_EE6existsEvE4typeEPS4_lS7_PKS4_fii
; %bb.0:
	s_load_dword s19, s[4:5], 0x28
	s_load_dwordx4 s[8:11], s[4:5], 0x0
	s_load_dwordx2 s[12:13], s[4:5], 0x10
                                        ; implicit-def: $sgpr7
	s_waitcnt lgkmcnt(0)
	s_ashr_i32 s0, s19, 31
	s_lshr_b32 s0, s0, 29
	s_add_i32 s0, s19, s0
	s_ashr_i32 s18, s0, 3
	s_ashr_i32 s0, s11, 31
	s_lshr_b32 s0, s0, 29
	s_add_u32 s14, s10, s0
	s_addc_u32 s15, s11, 0
	v_cmp_gt_i32_e64 s[0:1], s18, v0
	v_cmp_le_i32_e32 vcc, s18, v0
	s_and_saveexec_b64 s[2:3], vcc
	s_xor_b64 s[2:3], exec, s[2:3]
	s_cbranch_execz .LBB4_2
; %bb.1:
	s_load_dword s7, s[4:5], 0x3c
	s_waitcnt lgkmcnt(0)
	s_and_b32 s7, s7, 0xffff
.LBB4_2:
	s_or_saveexec_b64 s[2:3], s[2:3]
	s_load_dwordx2 s[10:11], s[4:5], 0x18
	s_ashr_i64 s[14:15], s[14:15], 3
	v_mov_b32_e32 v3, 0
	v_mov_b32_e32 v2, s6
	;; [unrolled: 1-line block ×3, first 2 shown]
	v_lshlrev_b32_e32 v6, 4, v0
	s_xor_b64 exec, exec, s[2:3]
	s_cbranch_execz .LBB4_6
; %bb.3:
	s_load_dword s16, s[4:5], 0x3c
	s_mul_i32 s17, s15, s6
	s_mul_hi_u32 s20, s14, s6
	s_add_i32 s17, s20, s17
	s_mul_i32 s7, s18, s6
	s_waitcnt lgkmcnt(0)
	s_and_b32 s20, s16, 0xffff
	s_mul_i32 s16, s14, s6
	s_lshl_b64 s[16:17], s[16:17], 4
	s_add_u32 s16, s8, s16
	s_addc_u32 s17, s9, s17
	v_mov_b32_e32 v1, s17
	v_add_co_u32_e32 v2, vcc, s16, v6
	v_addc_co_u32_e32 v4, vcc, 0, v1, vcc
	v_add_co_u32_e32 v1, vcc, 8, v2
	v_mov_b32_e32 v3, 0
	v_addc_co_u32_e32 v2, vcc, 0, v4, vcc
	s_lshl_b32 s21, s20, 4
	s_mov_b64 s[16:17], 0
	v_mov_b32_e32 v4, s13
	v_mov_b32_e32 v5, v0
.LBB4_4:                                ; =>This Inner Loop Header: Depth=1
	v_add_u32_e32 v11, s7, v5
	v_ashrrev_i32_e32 v12, 31, v11
	v_lshlrev_b64 v[11:12], 4, v[11:12]
	global_load_dwordx4 v[7:10], v[1:2], off offset:-8
	v_add_co_u32_e32 v15, vcc, s12, v11
	v_addc_co_u32_e32 v16, vcc, v4, v12, vcc
	global_load_dwordx4 v[11:14], v[15:16], off
	v_add_co_u32_e32 v1, vcc, s21, v1
	v_add_u32_e32 v5, s20, v5
	v_addc_co_u32_e32 v2, vcc, 0, v2, vcc
	v_cmp_le_i32_e32 vcc, s18, v5
	s_or_b64 s[16:17], vcc, s[16:17]
	s_waitcnt vmcnt(0)
	v_pk_add_f16 v7, v7, v11
	v_pk_add_f16 v8, v8, v12
	;; [unrolled: 1-line block ×3, first 2 shown]
	v_cvt_f32_f16_sdwa v11, v7 dst_sel:DWORD dst_unused:UNUSED_PAD src0_sel:WORD_1
	v_cvt_f32_f16_sdwa v12, v8 dst_sel:DWORD dst_unused:UNUSED_PAD src0_sel:WORD_1
	v_pk_add_f16 v10, v10, v14
	v_cvt_f32_f16_sdwa v13, v9 dst_sel:DWORD dst_unused:UNUSED_PAD src0_sel:WORD_1
	v_cvt_f32_f16_sdwa v14, v10 dst_sel:DWORD dst_unused:UNUSED_PAD src0_sel:WORD_1
	v_mul_f32_e32 v11, v11, v11
	v_mul_f32_e32 v12, v12, v12
	global_store_dwordx4 v[15:16], v[7:10], off
	v_mul_f32_e32 v13, v13, v13
	v_fma_mix_f32 v7, v7, v7, v11 op_sel_hi:[1,1,0]
	v_fma_mix_f32 v8, v8, v8, v12 op_sel_hi:[1,1,0]
	v_mul_f32_e32 v14, v14, v14
	v_fma_mix_f32 v9, v9, v9, v13 op_sel_hi:[1,1,0]
	v_add_f32_e32 v7, v7, v8
	v_fma_mix_f32 v10, v10, v10, v14 op_sel_hi:[1,1,0]
	v_add_f32_e32 v7, v7, v9
	v_add_f32_e32 v7, v7, v10
	;; [unrolled: 1-line block ×3, first 2 shown]
	s_andn2_b64 exec, exec, s[16:17]
	s_cbranch_execnz .LBB4_4
; %bb.5:
	s_or_b64 exec, exec, s[16:17]
	v_mov_b32_e32 v2, s6
	v_mov_b32_e32 v1, s20
.LBB4_6:
	s_or_b64 exec, exec, s[2:3]
	v_mbcnt_lo_u32_b32 v4, -1, 0
	v_mbcnt_hi_u32_b32 v4, -1, v4
	v_and_b32_e32 v5, 63, v4
	v_cmp_ne_u32_e32 vcc, 63, v5
	v_addc_co_u32_e32 v7, vcc, 0, v4, vcc
	v_lshlrev_b32_e32 v7, 2, v7
	ds_bpermute_b32 v7, v7, v3
	v_and_b32_e32 v8, 0x3c0, v0
	v_sub_u32_e64 v8, v1, v8 clamp
	v_add_u32_e32 v9, 1, v4
	v_cmp_lt_u32_e32 vcc, v9, v8
	s_waitcnt lgkmcnt(0)
	v_add_f32_e32 v7, v3, v7
	v_cndmask_b32_e32 v3, v3, v7, vcc
	v_cmp_gt_u32_e32 vcc, 62, v5
	v_cndmask_b32_e64 v7, 0, 2, vcc
	v_add_lshl_u32 v7, v7, v4, 2
	ds_bpermute_b32 v7, v7, v3
	v_add_u32_e32 v9, 2, v4
	v_cmp_lt_u32_e32 vcc, v9, v8
	v_add_u32_e32 v9, 4, v4
	s_waitcnt lgkmcnt(0)
	v_add_f32_e32 v7, v3, v7
	v_cndmask_b32_e32 v3, v3, v7, vcc
	v_cmp_gt_u32_e32 vcc, 60, v5
	v_cndmask_b32_e64 v7, 0, 4, vcc
	v_add_lshl_u32 v7, v7, v4, 2
	ds_bpermute_b32 v7, v7, v3
	v_cmp_lt_u32_e32 vcc, v9, v8
	v_add_u32_e32 v9, 8, v4
	s_waitcnt lgkmcnt(0)
	v_add_f32_e32 v7, v3, v7
	v_cndmask_b32_e32 v3, v3, v7, vcc
	v_cmp_gt_u32_e32 vcc, 56, v5
	v_cndmask_b32_e64 v7, 0, 8, vcc
	v_add_lshl_u32 v7, v7, v4, 2
	ds_bpermute_b32 v7, v7, v3
	;; [unrolled: 9-line block ×3, first 2 shown]
	v_add_u32_e32 v7, 16, v4
	v_cmp_lt_u32_e32 vcc, v7, v8
	s_waitcnt lgkmcnt(0)
	v_add_f32_e32 v5, v3, v5
	v_cndmask_b32_e32 v5, v3, v5, vcc
	v_lshlrev_b32_e32 v3, 2, v4
	v_or_b32_e32 v7, 0x80, v3
	ds_bpermute_b32 v7, v7, v5
	v_cmp_lt_u32_e32 vcc, v9, v8
	s_waitcnt lgkmcnt(0)
	v_add_f32_e32 v7, v5, v7
	v_cndmask_b32_e32 v5, v5, v7, vcc
	v_cmp_eq_u32_e32 vcc, 0, v4
	s_and_saveexec_b64 s[2:3], vcc
; %bb.7:
	v_lshrrev_b32_e32 v7, 4, v0
	v_and_b32_e32 v7, 60, v7
	ds_write_b32 v7, v5
; %bb.8:
	s_or_b64 exec, exec, s[2:3]
	v_cmp_gt_u32_e32 vcc, 16, v0
	s_waitcnt vmcnt(0) lgkmcnt(0)
	s_barrier
	s_and_saveexec_b64 s[6:7], vcc
	s_cbranch_execz .LBB4_10
; %bb.9:
	ds_read_b32 v5, v3
	v_and_b32_e32 v7, 15, v4
	v_cmp_ne_u32_e32 vcc, 15, v7
	v_addc_co_u32_e32 v8, vcc, 0, v4, vcc
	v_lshlrev_b32_e32 v8, 2, v8
	s_waitcnt lgkmcnt(0)
	ds_bpermute_b32 v8, v8, v5
	v_add_u32_e32 v9, 63, v1
	v_lshrrev_b32_e32 v9, 6, v9
	v_add_u32_e32 v10, 1, v7
	v_cmp_gt_u32_e64 s[2:3], 14, v7
	s_waitcnt lgkmcnt(0)
	v_add_f32_e32 v8, v5, v8
	v_cmp_lt_u32_e32 vcc, v10, v9
	v_cndmask_b32_e64 v10, 0, 2, s[2:3]
	v_cndmask_b32_e32 v8, v5, v8, vcc
	v_add_lshl_u32 v10, v10, v4, 2
	ds_bpermute_b32 v10, v10, v8
	v_add_u32_e32 v11, 2, v7
	v_cmp_lt_u32_e64 s[2:3], v11, v9
	v_or_b32_e32 v3, 32, v3
	s_waitcnt lgkmcnt(0)
	v_add_f32_e32 v10, v8, v10
	v_cndmask_b32_e64 v8, v8, v10, s[2:3]
	v_cmp_gt_u32_e64 s[2:3], 12, v7
	v_cndmask_b32_e64 v10, 0, 4, s[2:3]
	v_add_lshl_u32 v4, v10, v4, 2
	ds_bpermute_b32 v4, v4, v8
	v_add_u32_e32 v10, 4, v7
	v_cmp_lt_u32_e64 s[2:3], v10, v9
	v_add_u32_e32 v7, 8, v7
	s_waitcnt lgkmcnt(0)
	v_add_f32_e32 v4, v8, v4
	v_cndmask_b32_e64 v4, v8, v4, s[2:3]
	ds_bpermute_b32 v3, v3, v4
	v_cmp_lt_u32_e64 s[2:3], v7, v9
	s_waitcnt lgkmcnt(0)
	v_add_f32_e32 v3, v4, v3
	v_cndmask_b32_e64 v3, v4, v3, s[2:3]
	v_cndmask_b32_e32 v5, v5, v3, vcc
.LBB4_10:
	s_or_b64 exec, exec, s[6:7]
	v_cmp_eq_u32_e32 vcc, 0, v0
	s_and_saveexec_b64 s[2:3], vcc
	s_cbranch_execz .LBB4_12
; %bb.11:
	v_cvt_f32_i32_e32 v3, s19
	s_load_dword s4, s[4:5], 0x20
	s_mov_b32 s5, 0x800000
	v_div_scale_f32 v4, s[6:7], v3, v3, v5
	v_div_scale_f32 v7, vcc, v5, v3, v5
	v_rcp_f32_e32 v8, v4
	v_fma_f32 v9, -v4, v8, 1.0
	v_fmac_f32_e32 v8, v9, v8
	v_mul_f32_e32 v9, v7, v8
	v_fma_f32 v10, -v4, v9, v7
	v_fmac_f32_e32 v9, v10, v8
	v_fma_f32 v4, -v4, v9, v7
	v_div_fmas_f32 v4, v4, v8, v9
	v_div_fixup_f32 v3, v4, v3, v5
	s_waitcnt lgkmcnt(0)
	v_add_f32_e32 v3, s4, v3
	v_mul_f32_e32 v4, 0x4b800000, v3
	v_cmp_gt_f32_e32 vcc, s5, v3
	v_cndmask_b32_e32 v3, v3, v4, vcc
	v_rsq_f32_e32 v3, v3
	v_mul_f32_e32 v4, 0x45800000, v3
	v_cndmask_b32_e32 v3, v3, v4, vcc
	v_mov_b32_e32 v4, 0
	ds_write_b32 v4, v3 offset:64
.LBB4_12:
	s_or_b64 exec, exec, s[2:3]
	s_waitcnt lgkmcnt(0)
	s_barrier
	s_and_saveexec_b64 s[2:3], s[0:1]
	s_cbranch_execz .LBB4_15
; %bb.13:
	v_mad_u64_u32 v[3:4], s[0:1], s14, v2, 0
	v_mul_lo_u32 v7, s18, v2
	v_mov_b32_e32 v11, s13
	v_mad_u64_u32 v[4:5], s[0:1], s15, v2, v[4:5]
	v_mov_b32_e32 v2, 0
	ds_read_b32 v8, v2 offset:64
	v_lshlrev_b64 v[3:4], 4, v[3:4]
	v_mov_b32_e32 v5, s9
	v_add_co_u32_e32 v9, vcc, s8, v3
	v_addc_co_u32_e32 v10, vcc, v5, v4, vcc
	v_lshlrev_b64 v[2:3], 4, v[1:2]
	v_mov_b32_e32 v4, s10
	s_mov_b64 s[0:1], 0
	v_mov_b32_e32 v5, s11
.LBB4_14:                               ; =>This Inner Loop Header: Depth=1
	v_add_u32_e32 v12, v7, v0
	v_ashrrev_i32_e32 v13, 31, v12
	v_lshlrev_b64 v[12:13], 4, v[12:13]
	v_add_u32_e32 v0, v0, v1
	v_add_co_u32_e32 v12, vcc, s12, v12
	v_addc_co_u32_e32 v13, vcc, v11, v13, vcc
	global_load_dwordx4 v[12:15], v[12:13], off
	s_waitcnt vmcnt(0) lgkmcnt(0)
	v_fma_mixlo_f16 v16, v8, v12, 0 op_sel_hi:[0,1,0]
	v_fma_mixlo_f16 v17, v8, v13, 0 op_sel_hi:[0,1,0]
	v_fma_mixhi_f16 v16, v8, v12, 0 op_sel:[0,1,0] op_sel_hi:[0,1,0]
	v_add_co_u32_e32 v12, vcc, v4, v6
	v_fma_mixlo_f16 v18, v8, v14, 0 op_sel_hi:[0,1,0]
	v_fma_mixhi_f16 v17, v8, v13, 0 op_sel:[0,1,0] op_sel_hi:[0,1,0]
	v_fma_mixlo_f16 v19, v8, v15, 0 op_sel_hi:[0,1,0]
	v_addc_co_u32_e32 v13, vcc, 0, v5, vcc
	v_fma_mixhi_f16 v18, v8, v14, 0 op_sel:[0,1,0] op_sel_hi:[0,1,0]
	v_fma_mixhi_f16 v19, v8, v15, 0 op_sel:[0,1,0] op_sel_hi:[0,1,0]
	global_load_dwordx4 v[12:15], v[12:13], off
	s_waitcnt vmcnt(0)
	v_pk_mul_f16 v12, v12, v16
	v_add_co_u32_e32 v16, vcc, v9, v6
	v_pk_mul_f16 v13, v13, v17
	v_addc_co_u32_e32 v17, vcc, 0, v10, vcc
	v_add_co_u32_e32 v9, vcc, v9, v2
	v_addc_co_u32_e32 v10, vcc, v10, v3, vcc
	v_add_co_u32_e32 v4, vcc, v4, v2
	v_addc_co_u32_e32 v5, vcc, v5, v3, vcc
	v_cmp_le_i32_e32 vcc, s18, v0
	v_pk_mul_f16 v14, v14, v18
	v_pk_mul_f16 v15, v15, v19
	s_or_b64 s[0:1], vcc, s[0:1]
	global_store_dwordx4 v[16:17], v[12:15], off
	s_andn2_b64 exec, exec, s[0:1]
	s_cbranch_execnz .LBB4_14
.LBB4_15:
	s_endpgm
	.section	.rodata,"a",@progbits
	.p2align	6, 0x0
	.amdhsa_kernel _ZN4vllm25fused_add_rms_norm_kernelIN3c104HalfELi8EEENSt9enable_ifIXaagtT0_Li0Esr12_typeConvertIT_EE6existsEvE4typeEPS4_lS7_PKS4_fii
		.amdhsa_group_segment_fixed_size 68
		.amdhsa_private_segment_fixed_size 0
		.amdhsa_kernarg_size 304
		.amdhsa_user_sgpr_count 6
		.amdhsa_user_sgpr_private_segment_buffer 1
		.amdhsa_user_sgpr_dispatch_ptr 0
		.amdhsa_user_sgpr_queue_ptr 0
		.amdhsa_user_sgpr_kernarg_segment_ptr 1
		.amdhsa_user_sgpr_dispatch_id 0
		.amdhsa_user_sgpr_flat_scratch_init 0
		.amdhsa_user_sgpr_private_segment_size 0
		.amdhsa_uses_dynamic_stack 0
		.amdhsa_system_sgpr_private_segment_wavefront_offset 0
		.amdhsa_system_sgpr_workgroup_id_x 1
		.amdhsa_system_sgpr_workgroup_id_y 0
		.amdhsa_system_sgpr_workgroup_id_z 0
		.amdhsa_system_sgpr_workgroup_info 0
		.amdhsa_system_vgpr_workitem_id 0
		.amdhsa_next_free_vgpr 20
		.amdhsa_next_free_sgpr 22
		.amdhsa_reserve_vcc 1
		.amdhsa_reserve_flat_scratch 0
		.amdhsa_float_round_mode_32 0
		.amdhsa_float_round_mode_16_64 0
		.amdhsa_float_denorm_mode_32 3
		.amdhsa_float_denorm_mode_16_64 3
		.amdhsa_dx10_clamp 1
		.amdhsa_ieee_mode 1
		.amdhsa_fp16_overflow 0
		.amdhsa_exception_fp_ieee_invalid_op 0
		.amdhsa_exception_fp_denorm_src 0
		.amdhsa_exception_fp_ieee_div_zero 0
		.amdhsa_exception_fp_ieee_overflow 0
		.amdhsa_exception_fp_ieee_underflow 0
		.amdhsa_exception_fp_ieee_inexact 0
		.amdhsa_exception_int_div_zero 0
	.end_amdhsa_kernel
	.section	.text._ZN4vllm25fused_add_rms_norm_kernelIN3c104HalfELi8EEENSt9enable_ifIXaagtT0_Li0Esr12_typeConvertIT_EE6existsEvE4typeEPS4_lS7_PKS4_fii,"axG",@progbits,_ZN4vllm25fused_add_rms_norm_kernelIN3c104HalfELi8EEENSt9enable_ifIXaagtT0_Li0Esr12_typeConvertIT_EE6existsEvE4typeEPS4_lS7_PKS4_fii,comdat
.Lfunc_end4:
	.size	_ZN4vllm25fused_add_rms_norm_kernelIN3c104HalfELi8EEENSt9enable_ifIXaagtT0_Li0Esr12_typeConvertIT_EE6existsEvE4typeEPS4_lS7_PKS4_fii, .Lfunc_end4-_ZN4vllm25fused_add_rms_norm_kernelIN3c104HalfELi8EEENSt9enable_ifIXaagtT0_Li0Esr12_typeConvertIT_EE6existsEvE4typeEPS4_lS7_PKS4_fii
                                        ; -- End function
	.set _ZN4vllm25fused_add_rms_norm_kernelIN3c104HalfELi8EEENSt9enable_ifIXaagtT0_Li0Esr12_typeConvertIT_EE6existsEvE4typeEPS4_lS7_PKS4_fii.num_vgpr, 20
	.set _ZN4vllm25fused_add_rms_norm_kernelIN3c104HalfELi8EEENSt9enable_ifIXaagtT0_Li0Esr12_typeConvertIT_EE6existsEvE4typeEPS4_lS7_PKS4_fii.num_agpr, 0
	.set _ZN4vllm25fused_add_rms_norm_kernelIN3c104HalfELi8EEENSt9enable_ifIXaagtT0_Li0Esr12_typeConvertIT_EE6existsEvE4typeEPS4_lS7_PKS4_fii.numbered_sgpr, 22
	.set _ZN4vllm25fused_add_rms_norm_kernelIN3c104HalfELi8EEENSt9enable_ifIXaagtT0_Li0Esr12_typeConvertIT_EE6existsEvE4typeEPS4_lS7_PKS4_fii.num_named_barrier, 0
	.set _ZN4vllm25fused_add_rms_norm_kernelIN3c104HalfELi8EEENSt9enable_ifIXaagtT0_Li0Esr12_typeConvertIT_EE6existsEvE4typeEPS4_lS7_PKS4_fii.private_seg_size, 0
	.set _ZN4vllm25fused_add_rms_norm_kernelIN3c104HalfELi8EEENSt9enable_ifIXaagtT0_Li0Esr12_typeConvertIT_EE6existsEvE4typeEPS4_lS7_PKS4_fii.uses_vcc, 1
	.set _ZN4vllm25fused_add_rms_norm_kernelIN3c104HalfELi8EEENSt9enable_ifIXaagtT0_Li0Esr12_typeConvertIT_EE6existsEvE4typeEPS4_lS7_PKS4_fii.uses_flat_scratch, 0
	.set _ZN4vllm25fused_add_rms_norm_kernelIN3c104HalfELi8EEENSt9enable_ifIXaagtT0_Li0Esr12_typeConvertIT_EE6existsEvE4typeEPS4_lS7_PKS4_fii.has_dyn_sized_stack, 0
	.set _ZN4vllm25fused_add_rms_norm_kernelIN3c104HalfELi8EEENSt9enable_ifIXaagtT0_Li0Esr12_typeConvertIT_EE6existsEvE4typeEPS4_lS7_PKS4_fii.has_recursion, 0
	.set _ZN4vllm25fused_add_rms_norm_kernelIN3c104HalfELi8EEENSt9enable_ifIXaagtT0_Li0Esr12_typeConvertIT_EE6existsEvE4typeEPS4_lS7_PKS4_fii.has_indirect_call, 0
	.section	.AMDGPU.csdata,"",@progbits
; Kernel info:
; codeLenInByte = 1512
; TotalNumSgprs: 26
; NumVgprs: 20
; ScratchSize: 0
; MemoryBound: 0
; FloatMode: 240
; IeeeMode: 1
; LDSByteSize: 68 bytes/workgroup (compile time only)
; SGPRBlocks: 3
; VGPRBlocks: 4
; NumSGPRsForWavesPerEU: 26
; NumVGPRsForWavesPerEU: 20
; Occupancy: 10
; WaveLimiterHint : 0
; COMPUTE_PGM_RSRC2:SCRATCH_EN: 0
; COMPUTE_PGM_RSRC2:USER_SGPR: 6
; COMPUTE_PGM_RSRC2:TRAP_HANDLER: 0
; COMPUTE_PGM_RSRC2:TGID_X_EN: 1
; COMPUTE_PGM_RSRC2:TGID_Y_EN: 0
; COMPUTE_PGM_RSRC2:TGID_Z_EN: 0
; COMPUTE_PGM_RSRC2:TIDIG_COMP_CNT: 0
	.section	.text._ZN4vllm25fused_add_rms_norm_kernelIN3c108BFloat16ELi8EEENSt9enable_ifIXooeqT0_Li0Entsr12_typeConvertIT_EE6existsEvE4typeEPS4_lS7_PKS4_fii,"axG",@progbits,_ZN4vllm25fused_add_rms_norm_kernelIN3c108BFloat16ELi8EEENSt9enable_ifIXooeqT0_Li0Entsr12_typeConvertIT_EE6existsEvE4typeEPS4_lS7_PKS4_fii,comdat
	.protected	_ZN4vllm25fused_add_rms_norm_kernelIN3c108BFloat16ELi8EEENSt9enable_ifIXooeqT0_Li0Entsr12_typeConvertIT_EE6existsEvE4typeEPS4_lS7_PKS4_fii ; -- Begin function _ZN4vllm25fused_add_rms_norm_kernelIN3c108BFloat16ELi8EEENSt9enable_ifIXooeqT0_Li0Entsr12_typeConvertIT_EE6existsEvE4typeEPS4_lS7_PKS4_fii
	.globl	_ZN4vllm25fused_add_rms_norm_kernelIN3c108BFloat16ELi8EEENSt9enable_ifIXooeqT0_Li0Entsr12_typeConvertIT_EE6existsEvE4typeEPS4_lS7_PKS4_fii
	.p2align	8
	.type	_ZN4vllm25fused_add_rms_norm_kernelIN3c108BFloat16ELi8EEENSt9enable_ifIXooeqT0_Li0Entsr12_typeConvertIT_EE6existsEvE4typeEPS4_lS7_PKS4_fii,@function
_ZN4vllm25fused_add_rms_norm_kernelIN3c108BFloat16ELi8EEENSt9enable_ifIXooeqT0_Li0Entsr12_typeConvertIT_EE6existsEvE4typeEPS4_lS7_PKS4_fii: ; @_ZN4vllm25fused_add_rms_norm_kernelIN3c108BFloat16ELi8EEENSt9enable_ifIXooeqT0_Li0Entsr12_typeConvertIT_EE6existsEvE4typeEPS4_lS7_PKS4_fii
; %bb.0:
	s_load_dword s18, s[4:5], 0x28
	s_load_dwordx4 s[8:11], s[4:5], 0x0
	s_load_dwordx2 s[12:13], s[4:5], 0x10
                                        ; implicit-def: $sgpr7
	s_waitcnt lgkmcnt(0)
	v_cmp_gt_i32_e64 s[0:1], s18, v0
	v_cmp_le_i32_e32 vcc, s18, v0
	s_and_saveexec_b64 s[2:3], vcc
	s_xor_b64 s[2:3], exec, s[2:3]
	s_cbranch_execz .LBB5_2
; %bb.1:
	s_load_dword s7, s[4:5], 0x3c
	s_waitcnt lgkmcnt(0)
	s_and_b32 s7, s7, 0xffff
.LBB5_2:
	s_or_saveexec_b64 s[2:3], s[2:3]
	s_load_dwordx2 s[14:15], s[4:5], 0x18
	v_mov_b32_e32 v5, 0
	v_mov_b32_e32 v1, s6
	;; [unrolled: 1-line block ×3, first 2 shown]
	s_xor_b64 exec, exec, s[2:3]
	s_cbranch_execz .LBB5_6
; %bb.3:
	s_mul_i32 s7, s11, s6
	s_mul_hi_u32 s16, s10, s6
	s_add_i32 s17, s16, s7
	s_load_dword s7, s[4:5], 0x3c
	s_mul_i32 s16, s10, s6
	s_lshl_b64 s[16:17], s[16:17], 1
	s_add_u32 s19, s8, s16
	s_addc_u32 s21, s9, s17
	s_mul_i32 s20, s18, s6
	s_waitcnt lgkmcnt(0)
	s_and_b32 s7, s7, 0xffff
	v_mov_b32_e32 v2, 0
	s_mov_b64 s[16:17], 0
	v_mov_b32_e32 v6, s21
	v_mov_b32_e32 v7, s13
	s_movk_i32 s21, 0x7fff
	v_mov_b32_e32 v8, 0x7fc0
	v_mov_b32_e32 v5, 0
	;; [unrolled: 1-line block ×3, first 2 shown]
.LBB5_4:                                ; =>This Inner Loop Header: Depth=1
	v_ashrrev_i32_e32 v4, 31, v3
	v_lshlrev_b64 v[9:10], 1, v[3:4]
	v_add_u32_e32 v1, s20, v3
	v_add_co_u32_e32 v9, vcc, s19, v9
	v_lshlrev_b64 v[11:12], 1, v[1:2]
	v_addc_co_u32_e32 v10, vcc, v6, v10, vcc
	v_add_co_u32_e32 v11, vcc, s12, v11
	v_addc_co_u32_e32 v12, vcc, v7, v12, vcc
	global_load_ushort v1, v[11:12], off
	global_load_ushort v4, v[9:10], off
	v_add_u32_e32 v3, s7, v3
	v_cmp_le_i32_e32 vcc, s18, v3
	s_or_b64 s[16:17], vcc, s[16:17]
	s_waitcnt vmcnt(1)
	v_lshlrev_b32_e32 v1, 16, v1
	s_waitcnt vmcnt(0)
	v_lshlrev_b32_e32 v4, 16, v4
	v_add_f32_e32 v1, v4, v1
	v_bfe_u32 v4, v1, 16, 1
	v_cmp_o_f32_e32 vcc, v1, v1
	v_add3_u32 v1, v1, v4, s21
	v_cndmask_b32_sdwa v1, v8, v1, vcc dst_sel:DWORD dst_unused:UNUSED_PAD src0_sel:DWORD src1_sel:WORD_1
	v_lshlrev_b32_e32 v4, 16, v1
	v_fmac_f32_e32 v5, v4, v4
	global_store_short v[11:12], v1, off
	s_andn2_b64 exec, exec, s[16:17]
	s_cbranch_execnz .LBB5_4
; %bb.5:
	s_or_b64 exec, exec, s[16:17]
	v_mov_b32_e32 v1, s6
	v_mov_b32_e32 v4, s7
.LBB5_6:
	s_or_b64 exec, exec, s[2:3]
	v_mbcnt_lo_u32_b32 v2, -1, 0
	v_mbcnt_hi_u32_b32 v2, -1, v2
	v_and_b32_e32 v3, 63, v2
	v_cmp_ne_u32_e32 vcc, 63, v3
	v_addc_co_u32_e32 v6, vcc, 0, v2, vcc
	v_lshlrev_b32_e32 v6, 2, v6
	ds_bpermute_b32 v6, v6, v5
	v_and_b32_e32 v7, 0x3c0, v0
	v_sub_u32_e64 v7, v4, v7 clamp
	v_add_u32_e32 v8, 1, v2
	v_cmp_lt_u32_e32 vcc, v8, v7
	s_waitcnt lgkmcnt(0)
	v_add_f32_e32 v6, v5, v6
	v_cndmask_b32_e32 v5, v5, v6, vcc
	v_cmp_gt_u32_e32 vcc, 62, v3
	v_cndmask_b32_e64 v6, 0, 2, vcc
	v_add_lshl_u32 v6, v6, v2, 2
	ds_bpermute_b32 v6, v6, v5
	v_add_u32_e32 v8, 2, v2
	v_cmp_lt_u32_e32 vcc, v8, v7
	v_add_u32_e32 v8, 4, v2
	s_waitcnt lgkmcnt(0)
	v_add_f32_e32 v6, v5, v6
	v_cndmask_b32_e32 v5, v5, v6, vcc
	v_cmp_gt_u32_e32 vcc, 60, v3
	v_cndmask_b32_e64 v6, 0, 4, vcc
	v_add_lshl_u32 v6, v6, v2, 2
	ds_bpermute_b32 v6, v6, v5
	v_cmp_lt_u32_e32 vcc, v8, v7
	v_add_u32_e32 v8, 8, v2
	s_waitcnt lgkmcnt(0)
	v_add_f32_e32 v6, v5, v6
	v_cndmask_b32_e32 v5, v5, v6, vcc
	v_cmp_gt_u32_e32 vcc, 56, v3
	v_cndmask_b32_e64 v6, 0, 8, vcc
	v_add_lshl_u32 v6, v6, v2, 2
	ds_bpermute_b32 v6, v6, v5
	;; [unrolled: 9-line block ×3, first 2 shown]
	v_add_u32_e32 v6, 16, v2
	v_cmp_lt_u32_e32 vcc, v6, v7
	s_waitcnt lgkmcnt(0)
	v_add_f32_e32 v3, v5, v3
	v_cndmask_b32_e32 v5, v5, v3, vcc
	v_lshlrev_b32_e32 v3, 2, v2
	v_or_b32_e32 v6, 0x80, v3
	ds_bpermute_b32 v6, v6, v5
	v_cmp_lt_u32_e32 vcc, v8, v7
	s_waitcnt lgkmcnt(0)
	v_add_f32_e32 v6, v5, v6
	v_cndmask_b32_e32 v5, v5, v6, vcc
	v_cmp_eq_u32_e32 vcc, 0, v2
	s_and_saveexec_b64 s[2:3], vcc
; %bb.7:
	v_lshrrev_b32_e32 v6, 4, v0
	v_and_b32_e32 v6, 60, v6
	ds_write_b32 v6, v5
; %bb.8:
	s_or_b64 exec, exec, s[2:3]
	v_cmp_gt_u32_e32 vcc, 16, v0
	s_waitcnt vmcnt(0) lgkmcnt(0)
	s_barrier
	s_and_saveexec_b64 s[6:7], vcc
	s_cbranch_execz .LBB5_10
; %bb.9:
	ds_read_b32 v5, v3
	v_and_b32_e32 v6, 15, v2
	v_cmp_ne_u32_e32 vcc, 15, v6
	v_addc_co_u32_e32 v7, vcc, 0, v2, vcc
	v_lshlrev_b32_e32 v7, 2, v7
	s_waitcnt lgkmcnt(0)
	ds_bpermute_b32 v7, v7, v5
	v_add_u32_e32 v8, 63, v4
	v_lshrrev_b32_e32 v8, 6, v8
	v_add_u32_e32 v9, 1, v6
	v_cmp_gt_u32_e64 s[2:3], 14, v6
	s_waitcnt lgkmcnt(0)
	v_add_f32_e32 v7, v5, v7
	v_cmp_lt_u32_e32 vcc, v9, v8
	v_cndmask_b32_e64 v9, 0, 2, s[2:3]
	v_cndmask_b32_e32 v7, v5, v7, vcc
	v_add_lshl_u32 v9, v9, v2, 2
	ds_bpermute_b32 v9, v9, v7
	v_add_u32_e32 v10, 2, v6
	v_cmp_lt_u32_e64 s[2:3], v10, v8
	v_or_b32_e32 v3, 32, v3
	s_waitcnt lgkmcnt(0)
	v_add_f32_e32 v9, v7, v9
	v_cndmask_b32_e64 v7, v7, v9, s[2:3]
	v_cmp_gt_u32_e64 s[2:3], 12, v6
	v_cndmask_b32_e64 v9, 0, 4, s[2:3]
	v_add_lshl_u32 v2, v9, v2, 2
	ds_bpermute_b32 v2, v2, v7
	v_add_u32_e32 v9, 4, v6
	v_cmp_lt_u32_e64 s[2:3], v9, v8
	v_add_u32_e32 v6, 8, v6
	s_waitcnt lgkmcnt(0)
	v_add_f32_e32 v2, v7, v2
	v_cndmask_b32_e64 v2, v7, v2, s[2:3]
	ds_bpermute_b32 v3, v3, v2
	v_cmp_lt_u32_e64 s[2:3], v6, v8
	s_waitcnt lgkmcnt(0)
	v_add_f32_e32 v3, v2, v3
	v_cndmask_b32_e64 v2, v2, v3, s[2:3]
	v_cndmask_b32_e32 v5, v5, v2, vcc
.LBB5_10:
	s_or_b64 exec, exec, s[6:7]
	v_cmp_eq_u32_e32 vcc, 0, v0
	s_and_saveexec_b64 s[2:3], vcc
	s_cbranch_execz .LBB5_12
; %bb.11:
	v_cvt_f32_i32_e32 v2, s18
	s_load_dword s4, s[4:5], 0x20
	s_mov_b32 s5, 0x800000
	v_div_scale_f32 v3, s[6:7], v2, v2, v5
	v_div_scale_f32 v6, vcc, v5, v2, v5
	v_rcp_f32_e32 v7, v3
	v_fma_f32 v8, -v3, v7, 1.0
	v_fmac_f32_e32 v7, v8, v7
	v_mul_f32_e32 v8, v6, v7
	v_fma_f32 v9, -v3, v8, v6
	v_fmac_f32_e32 v8, v9, v7
	v_fma_f32 v3, -v3, v8, v6
	v_div_fmas_f32 v3, v3, v7, v8
	v_div_fixup_f32 v2, v3, v2, v5
	s_waitcnt lgkmcnt(0)
	v_add_f32_e32 v2, s4, v2
	v_mul_f32_e32 v3, 0x4b800000, v2
	v_cmp_gt_f32_e32 vcc, s5, v2
	v_cndmask_b32_e32 v2, v2, v3, vcc
	v_rsq_f32_e32 v2, v2
	v_mul_f32_e32 v3, 0x45800000, v2
	v_cndmask_b32_e32 v2, v2, v3, vcc
	v_mov_b32_e32 v3, 0
	ds_write_b32 v3, v2 offset:64
.LBB5_12:
	s_or_b64 exec, exec, s[2:3]
	s_waitcnt lgkmcnt(0)
	s_barrier
	s_and_saveexec_b64 s[2:3], s[0:1]
	s_cbranch_execz .LBB5_15
; %bb.13:
	v_mad_u64_u32 v[7:8], s[0:1], s10, v1, 0
	v_mul_lo_u32 v5, s18, v1
	v_mov_b32_e32 v9, s9
	v_mov_b32_e32 v2, v8
	v_mad_u64_u32 v[1:2], s[0:1], s11, v1, v[2:3]
	v_mov_b32_e32 v3, 0
	ds_read_b32 v6, v3 offset:64
	v_mov_b32_e32 v8, v1
	v_lshlrev_b64 v[1:2], 1, v[7:8]
	s_mov_b64 s[2:3], 0
	v_add_co_u32_e32 v7, vcc, s8, v1
	v_addc_co_u32_e32 v8, vcc, v9, v2, vcc
	v_mov_b32_e32 v9, s13
	s_movk_i32 s4, 0x7fff
	v_mov_b32_e32 v10, s15
	v_mov_b32_e32 v11, 0x7fc00000
	v_mov_b32_e32 v12, 0x7fc0
.LBB5_14:                               ; =>This Inner Loop Header: Depth=1
	v_add_u32_e32 v2, v5, v0
	v_lshlrev_b64 v[13:14], 1, v[2:3]
	v_ashrrev_i32_e32 v1, 31, v0
	v_lshlrev_b64 v[1:2], 1, v[0:1]
	v_add_co_u32_e32 v13, vcc, s12, v13
	v_addc_co_u32_e32 v14, vcc, v9, v14, vcc
	v_add_co_u32_e32 v15, vcc, s14, v1
	v_addc_co_u32_e32 v16, vcc, v10, v2, vcc
	global_load_ushort v17, v[13:14], off
	global_load_ushort v18, v[15:16], off
	v_add_u32_e32 v0, v0, v4
	v_cmp_le_i32_e32 vcc, s18, v0
	s_or_b64 s[2:3], vcc, s[2:3]
	v_add_co_u32_e64 v1, s[0:1], v7, v1
	v_addc_co_u32_e64 v2, s[0:1], v8, v2, s[0:1]
	s_waitcnt vmcnt(1)
	v_lshlrev_b32_e32 v13, 16, v17
	s_waitcnt lgkmcnt(0)
	v_mul_f32_e32 v13, v6, v13
	v_bfe_u32 v15, v13, 16, 1
	v_add3_u32 v15, v13, v15, s4
	v_and_b32_e32 v15, 0xffff0000, v15
	v_cmp_o_f32_e32 vcc, v13, v13
	s_waitcnt vmcnt(0)
	v_lshlrev_b32_e32 v14, 16, v18
	v_cndmask_b32_e32 v13, v11, v15, vcc
	v_mul_f32_e32 v13, v13, v14
	v_bfe_u32 v14, v13, 16, 1
	v_cmp_o_f32_e32 vcc, v13, v13
	v_add3_u32 v13, v13, v14, s4
	v_cndmask_b32_sdwa v13, v12, v13, vcc dst_sel:DWORD dst_unused:UNUSED_PAD src0_sel:DWORD src1_sel:WORD_1
	global_store_short v[1:2], v13, off
	s_andn2_b64 exec, exec, s[2:3]
	s_cbranch_execnz .LBB5_14
.LBB5_15:
	s_endpgm
	.section	.rodata,"a",@progbits
	.p2align	6, 0x0
	.amdhsa_kernel _ZN4vllm25fused_add_rms_norm_kernelIN3c108BFloat16ELi8EEENSt9enable_ifIXooeqT0_Li0Entsr12_typeConvertIT_EE6existsEvE4typeEPS4_lS7_PKS4_fii
		.amdhsa_group_segment_fixed_size 68
		.amdhsa_private_segment_fixed_size 0
		.amdhsa_kernarg_size 304
		.amdhsa_user_sgpr_count 6
		.amdhsa_user_sgpr_private_segment_buffer 1
		.amdhsa_user_sgpr_dispatch_ptr 0
		.amdhsa_user_sgpr_queue_ptr 0
		.amdhsa_user_sgpr_kernarg_segment_ptr 1
		.amdhsa_user_sgpr_dispatch_id 0
		.amdhsa_user_sgpr_flat_scratch_init 0
		.amdhsa_user_sgpr_private_segment_size 0
		.amdhsa_uses_dynamic_stack 0
		.amdhsa_system_sgpr_private_segment_wavefront_offset 0
		.amdhsa_system_sgpr_workgroup_id_x 1
		.amdhsa_system_sgpr_workgroup_id_y 0
		.amdhsa_system_sgpr_workgroup_id_z 0
		.amdhsa_system_sgpr_workgroup_info 0
		.amdhsa_system_vgpr_workitem_id 0
		.amdhsa_next_free_vgpr 19
		.amdhsa_next_free_sgpr 22
		.amdhsa_reserve_vcc 1
		.amdhsa_reserve_flat_scratch 0
		.amdhsa_float_round_mode_32 0
		.amdhsa_float_round_mode_16_64 0
		.amdhsa_float_denorm_mode_32 3
		.amdhsa_float_denorm_mode_16_64 3
		.amdhsa_dx10_clamp 1
		.amdhsa_ieee_mode 1
		.amdhsa_fp16_overflow 0
		.amdhsa_exception_fp_ieee_invalid_op 0
		.amdhsa_exception_fp_denorm_src 0
		.amdhsa_exception_fp_ieee_div_zero 0
		.amdhsa_exception_fp_ieee_overflow 0
		.amdhsa_exception_fp_ieee_underflow 0
		.amdhsa_exception_fp_ieee_inexact 0
		.amdhsa_exception_int_div_zero 0
	.end_amdhsa_kernel
	.section	.text._ZN4vllm25fused_add_rms_norm_kernelIN3c108BFloat16ELi8EEENSt9enable_ifIXooeqT0_Li0Entsr12_typeConvertIT_EE6existsEvE4typeEPS4_lS7_PKS4_fii,"axG",@progbits,_ZN4vllm25fused_add_rms_norm_kernelIN3c108BFloat16ELi8EEENSt9enable_ifIXooeqT0_Li0Entsr12_typeConvertIT_EE6existsEvE4typeEPS4_lS7_PKS4_fii,comdat
.Lfunc_end5:
	.size	_ZN4vllm25fused_add_rms_norm_kernelIN3c108BFloat16ELi8EEENSt9enable_ifIXooeqT0_Li0Entsr12_typeConvertIT_EE6existsEvE4typeEPS4_lS7_PKS4_fii, .Lfunc_end5-_ZN4vllm25fused_add_rms_norm_kernelIN3c108BFloat16ELi8EEENSt9enable_ifIXooeqT0_Li0Entsr12_typeConvertIT_EE6existsEvE4typeEPS4_lS7_PKS4_fii
                                        ; -- End function
	.set _ZN4vllm25fused_add_rms_norm_kernelIN3c108BFloat16ELi8EEENSt9enable_ifIXooeqT0_Li0Entsr12_typeConvertIT_EE6existsEvE4typeEPS4_lS7_PKS4_fii.num_vgpr, 19
	.set _ZN4vllm25fused_add_rms_norm_kernelIN3c108BFloat16ELi8EEENSt9enable_ifIXooeqT0_Li0Entsr12_typeConvertIT_EE6existsEvE4typeEPS4_lS7_PKS4_fii.num_agpr, 0
	.set _ZN4vllm25fused_add_rms_norm_kernelIN3c108BFloat16ELi8EEENSt9enable_ifIXooeqT0_Li0Entsr12_typeConvertIT_EE6existsEvE4typeEPS4_lS7_PKS4_fii.numbered_sgpr, 22
	.set _ZN4vllm25fused_add_rms_norm_kernelIN3c108BFloat16ELi8EEENSt9enable_ifIXooeqT0_Li0Entsr12_typeConvertIT_EE6existsEvE4typeEPS4_lS7_PKS4_fii.num_named_barrier, 0
	.set _ZN4vllm25fused_add_rms_norm_kernelIN3c108BFloat16ELi8EEENSt9enable_ifIXooeqT0_Li0Entsr12_typeConvertIT_EE6existsEvE4typeEPS4_lS7_PKS4_fii.private_seg_size, 0
	.set _ZN4vllm25fused_add_rms_norm_kernelIN3c108BFloat16ELi8EEENSt9enable_ifIXooeqT0_Li0Entsr12_typeConvertIT_EE6existsEvE4typeEPS4_lS7_PKS4_fii.uses_vcc, 1
	.set _ZN4vllm25fused_add_rms_norm_kernelIN3c108BFloat16ELi8EEENSt9enable_ifIXooeqT0_Li0Entsr12_typeConvertIT_EE6existsEvE4typeEPS4_lS7_PKS4_fii.uses_flat_scratch, 0
	.set _ZN4vllm25fused_add_rms_norm_kernelIN3c108BFloat16ELi8EEENSt9enable_ifIXooeqT0_Li0Entsr12_typeConvertIT_EE6existsEvE4typeEPS4_lS7_PKS4_fii.has_dyn_sized_stack, 0
	.set _ZN4vllm25fused_add_rms_norm_kernelIN3c108BFloat16ELi8EEENSt9enable_ifIXooeqT0_Li0Entsr12_typeConvertIT_EE6existsEvE4typeEPS4_lS7_PKS4_fii.has_recursion, 0
	.set _ZN4vllm25fused_add_rms_norm_kernelIN3c108BFloat16ELi8EEENSt9enable_ifIXooeqT0_Li0Entsr12_typeConvertIT_EE6existsEvE4typeEPS4_lS7_PKS4_fii.has_indirect_call, 0
	.section	.AMDGPU.csdata,"",@progbits
; Kernel info:
; codeLenInByte = 1400
; TotalNumSgprs: 26
; NumVgprs: 19
; ScratchSize: 0
; MemoryBound: 0
; FloatMode: 240
; IeeeMode: 1
; LDSByteSize: 68 bytes/workgroup (compile time only)
; SGPRBlocks: 3
; VGPRBlocks: 4
; NumSGPRsForWavesPerEU: 26
; NumVGPRsForWavesPerEU: 19
; Occupancy: 10
; WaveLimiterHint : 0
; COMPUTE_PGM_RSRC2:SCRATCH_EN: 0
; COMPUTE_PGM_RSRC2:USER_SGPR: 6
; COMPUTE_PGM_RSRC2:TRAP_HANDLER: 0
; COMPUTE_PGM_RSRC2:TGID_X_EN: 1
; COMPUTE_PGM_RSRC2:TGID_Y_EN: 0
; COMPUTE_PGM_RSRC2:TGID_Z_EN: 0
; COMPUTE_PGM_RSRC2:TIDIG_COMP_CNT: 0
	.section	.text._ZN4vllm25fused_add_rms_norm_kernelIfLi0EEENSt9enable_ifIXooeqT0_Li0Entsr12_typeConvertIT_EE6existsEvE4typeEPS2_lS5_PKS2_fii,"axG",@progbits,_ZN4vllm25fused_add_rms_norm_kernelIfLi0EEENSt9enable_ifIXooeqT0_Li0Entsr12_typeConvertIT_EE6existsEvE4typeEPS2_lS5_PKS2_fii,comdat
	.protected	_ZN4vllm25fused_add_rms_norm_kernelIfLi0EEENSt9enable_ifIXooeqT0_Li0Entsr12_typeConvertIT_EE6existsEvE4typeEPS2_lS5_PKS2_fii ; -- Begin function _ZN4vllm25fused_add_rms_norm_kernelIfLi0EEENSt9enable_ifIXooeqT0_Li0Entsr12_typeConvertIT_EE6existsEvE4typeEPS2_lS5_PKS2_fii
	.globl	_ZN4vllm25fused_add_rms_norm_kernelIfLi0EEENSt9enable_ifIXooeqT0_Li0Entsr12_typeConvertIT_EE6existsEvE4typeEPS2_lS5_PKS2_fii
	.p2align	8
	.type	_ZN4vllm25fused_add_rms_norm_kernelIfLi0EEENSt9enable_ifIXooeqT0_Li0Entsr12_typeConvertIT_EE6existsEvE4typeEPS2_lS5_PKS2_fii,@function
_ZN4vllm25fused_add_rms_norm_kernelIfLi0EEENSt9enable_ifIXooeqT0_Li0Entsr12_typeConvertIT_EE6existsEvE4typeEPS2_lS5_PKS2_fii: ; @_ZN4vllm25fused_add_rms_norm_kernelIfLi0EEENSt9enable_ifIXooeqT0_Li0Entsr12_typeConvertIT_EE6existsEvE4typeEPS2_lS5_PKS2_fii
; %bb.0:
	s_load_dword s18, s[4:5], 0x28
	s_load_dwordx4 s[8:11], s[4:5], 0x0
	s_load_dwordx2 s[12:13], s[4:5], 0x10
                                        ; implicit-def: $sgpr7
	s_waitcnt lgkmcnt(0)
	v_cmp_gt_i32_e64 s[0:1], s18, v0
	v_cmp_le_i32_e32 vcc, s18, v0
	s_and_saveexec_b64 s[2:3], vcc
	s_xor_b64 s[2:3], exec, s[2:3]
	s_cbranch_execz .LBB6_2
; %bb.1:
	s_load_dword s7, s[4:5], 0x3c
	s_waitcnt lgkmcnt(0)
	s_and_b32 s7, s7, 0xffff
.LBB6_2:
	s_or_saveexec_b64 s[2:3], s[2:3]
	s_load_dwordx2 s[14:15], s[4:5], 0x18
	v_mov_b32_e32 v5, 0
	v_mov_b32_e32 v1, s6
	;; [unrolled: 1-line block ×3, first 2 shown]
	s_xor_b64 exec, exec, s[2:3]
	s_cbranch_execz .LBB6_6
; %bb.3:
	s_mul_i32 s7, s11, s6
	s_mul_hi_u32 s16, s10, s6
	s_add_i32 s17, s16, s7
	s_load_dword s7, s[4:5], 0x3c
	s_mul_i32 s16, s10, s6
	s_lshl_b64 s[16:17], s[16:17], 2
	s_add_u32 s19, s8, s16
	s_addc_u32 s21, s9, s17
	s_mul_i32 s20, s18, s6
	s_waitcnt lgkmcnt(0)
	s_and_b32 s7, s7, 0xffff
	v_mov_b32_e32 v2, 0
	s_mov_b64 s[16:17], 0
	v_mov_b32_e32 v6, s21
	v_mov_b32_e32 v7, s13
	;; [unrolled: 1-line block ×4, first 2 shown]
.LBB6_4:                                ; =>This Inner Loop Header: Depth=1
	v_ashrrev_i32_e32 v4, 31, v3
	v_lshlrev_b64 v[8:9], 2, v[3:4]
	v_add_u32_e32 v1, s20, v3
	v_add_co_u32_e32 v8, vcc, s19, v8
	v_addc_co_u32_e32 v9, vcc, v6, v9, vcc
	global_load_dword v4, v[8:9], off
	v_lshlrev_b64 v[8:9], 2, v[1:2]
	v_add_u32_e32 v3, s7, v3
	v_add_co_u32_e32 v8, vcc, s12, v8
	v_addc_co_u32_e32 v9, vcc, v7, v9, vcc
	global_load_dword v1, v[8:9], off
	v_cmp_le_i32_e32 vcc, s18, v3
	s_or_b64 s[16:17], vcc, s[16:17]
	s_waitcnt vmcnt(0)
	v_add_f32_e32 v1, v4, v1
	v_fmac_f32_e32 v5, v1, v1
	global_store_dword v[8:9], v1, off
	s_andn2_b64 exec, exec, s[16:17]
	s_cbranch_execnz .LBB6_4
; %bb.5:
	s_or_b64 exec, exec, s[16:17]
	v_mov_b32_e32 v1, s6
	v_mov_b32_e32 v4, s7
.LBB6_6:
	s_or_b64 exec, exec, s[2:3]
	v_mbcnt_lo_u32_b32 v2, -1, 0
	v_mbcnt_hi_u32_b32 v2, -1, v2
	v_and_b32_e32 v3, 63, v2
	v_cmp_ne_u32_e32 vcc, 63, v3
	v_addc_co_u32_e32 v6, vcc, 0, v2, vcc
	v_lshlrev_b32_e32 v6, 2, v6
	ds_bpermute_b32 v6, v6, v5
	v_and_b32_e32 v7, 0x3c0, v0
	v_sub_u32_e64 v7, v4, v7 clamp
	v_add_u32_e32 v8, 1, v2
	v_cmp_lt_u32_e32 vcc, v8, v7
	s_waitcnt lgkmcnt(0)
	v_add_f32_e32 v6, v5, v6
	v_cndmask_b32_e32 v5, v5, v6, vcc
	v_cmp_gt_u32_e32 vcc, 62, v3
	v_cndmask_b32_e64 v6, 0, 2, vcc
	v_add_lshl_u32 v6, v6, v2, 2
	ds_bpermute_b32 v6, v6, v5
	v_add_u32_e32 v8, 2, v2
	v_cmp_lt_u32_e32 vcc, v8, v7
	v_add_u32_e32 v8, 4, v2
	s_waitcnt lgkmcnt(0)
	v_add_f32_e32 v6, v5, v6
	v_cndmask_b32_e32 v5, v5, v6, vcc
	v_cmp_gt_u32_e32 vcc, 60, v3
	v_cndmask_b32_e64 v6, 0, 4, vcc
	v_add_lshl_u32 v6, v6, v2, 2
	ds_bpermute_b32 v6, v6, v5
	v_cmp_lt_u32_e32 vcc, v8, v7
	v_add_u32_e32 v8, 8, v2
	s_waitcnt lgkmcnt(0)
	v_add_f32_e32 v6, v5, v6
	v_cndmask_b32_e32 v5, v5, v6, vcc
	v_cmp_gt_u32_e32 vcc, 56, v3
	v_cndmask_b32_e64 v6, 0, 8, vcc
	v_add_lshl_u32 v6, v6, v2, 2
	ds_bpermute_b32 v6, v6, v5
	;; [unrolled: 9-line block ×3, first 2 shown]
	v_add_u32_e32 v6, 16, v2
	v_cmp_lt_u32_e32 vcc, v6, v7
	s_waitcnt lgkmcnt(0)
	v_add_f32_e32 v3, v5, v3
	v_cndmask_b32_e32 v5, v5, v3, vcc
	v_lshlrev_b32_e32 v3, 2, v2
	v_or_b32_e32 v6, 0x80, v3
	ds_bpermute_b32 v6, v6, v5
	v_cmp_lt_u32_e32 vcc, v8, v7
	s_waitcnt lgkmcnt(0)
	v_add_f32_e32 v6, v5, v6
	v_cndmask_b32_e32 v5, v5, v6, vcc
	v_cmp_eq_u32_e32 vcc, 0, v2
	s_and_saveexec_b64 s[2:3], vcc
; %bb.7:
	v_lshrrev_b32_e32 v6, 4, v0
	v_and_b32_e32 v6, 60, v6
	ds_write_b32 v6, v5
; %bb.8:
	s_or_b64 exec, exec, s[2:3]
	v_cmp_gt_u32_e32 vcc, 16, v0
	s_waitcnt vmcnt(0) lgkmcnt(0)
	s_barrier
	s_and_saveexec_b64 s[6:7], vcc
	s_cbranch_execz .LBB6_10
; %bb.9:
	ds_read_b32 v5, v3
	v_and_b32_e32 v6, 15, v2
	v_cmp_ne_u32_e32 vcc, 15, v6
	v_addc_co_u32_e32 v7, vcc, 0, v2, vcc
	v_lshlrev_b32_e32 v7, 2, v7
	s_waitcnt lgkmcnt(0)
	ds_bpermute_b32 v7, v7, v5
	v_add_u32_e32 v8, 63, v4
	v_lshrrev_b32_e32 v8, 6, v8
	v_add_u32_e32 v9, 1, v6
	v_cmp_gt_u32_e64 s[2:3], 14, v6
	s_waitcnt lgkmcnt(0)
	v_add_f32_e32 v7, v5, v7
	v_cmp_lt_u32_e32 vcc, v9, v8
	v_cndmask_b32_e64 v9, 0, 2, s[2:3]
	v_cndmask_b32_e32 v7, v5, v7, vcc
	v_add_lshl_u32 v9, v9, v2, 2
	ds_bpermute_b32 v9, v9, v7
	v_add_u32_e32 v10, 2, v6
	v_cmp_lt_u32_e64 s[2:3], v10, v8
	v_or_b32_e32 v3, 32, v3
	s_waitcnt lgkmcnt(0)
	v_add_f32_e32 v9, v7, v9
	v_cndmask_b32_e64 v7, v7, v9, s[2:3]
	v_cmp_gt_u32_e64 s[2:3], 12, v6
	v_cndmask_b32_e64 v9, 0, 4, s[2:3]
	v_add_lshl_u32 v2, v9, v2, 2
	ds_bpermute_b32 v2, v2, v7
	v_add_u32_e32 v9, 4, v6
	v_cmp_lt_u32_e64 s[2:3], v9, v8
	v_add_u32_e32 v6, 8, v6
	s_waitcnt lgkmcnt(0)
	v_add_f32_e32 v2, v7, v2
	v_cndmask_b32_e64 v2, v7, v2, s[2:3]
	ds_bpermute_b32 v3, v3, v2
	v_cmp_lt_u32_e64 s[2:3], v6, v8
	s_waitcnt lgkmcnt(0)
	v_add_f32_e32 v3, v2, v3
	v_cndmask_b32_e64 v2, v2, v3, s[2:3]
	v_cndmask_b32_e32 v5, v5, v2, vcc
.LBB6_10:
	s_or_b64 exec, exec, s[6:7]
	v_cmp_eq_u32_e32 vcc, 0, v0
	s_and_saveexec_b64 s[2:3], vcc
	s_cbranch_execz .LBB6_12
; %bb.11:
	v_cvt_f32_i32_e32 v2, s18
	s_load_dword s4, s[4:5], 0x20
	s_mov_b32 s5, 0x800000
	v_div_scale_f32 v3, s[6:7], v2, v2, v5
	v_div_scale_f32 v6, vcc, v5, v2, v5
	v_rcp_f32_e32 v7, v3
	v_fma_f32 v8, -v3, v7, 1.0
	v_fmac_f32_e32 v7, v8, v7
	v_mul_f32_e32 v8, v6, v7
	v_fma_f32 v9, -v3, v8, v6
	v_fmac_f32_e32 v8, v9, v7
	v_fma_f32 v3, -v3, v8, v6
	v_div_fmas_f32 v3, v3, v7, v8
	v_div_fixup_f32 v2, v3, v2, v5
	s_waitcnt lgkmcnt(0)
	v_add_f32_e32 v2, s4, v2
	v_mul_f32_e32 v3, 0x4b800000, v2
	v_cmp_gt_f32_e32 vcc, s5, v2
	v_cndmask_b32_e32 v2, v2, v3, vcc
	v_rsq_f32_e32 v2, v2
	v_mul_f32_e32 v3, 0x45800000, v2
	v_cndmask_b32_e32 v2, v2, v3, vcc
	v_mov_b32_e32 v3, 0
	ds_write_b32 v3, v2 offset:64
.LBB6_12:
	s_or_b64 exec, exec, s[2:3]
	s_waitcnt lgkmcnt(0)
	s_barrier
	s_and_saveexec_b64 s[2:3], s[0:1]
	s_cbranch_execz .LBB6_15
; %bb.13:
	v_mad_u64_u32 v[7:8], s[0:1], s10, v1, 0
	v_mul_lo_u32 v5, s18, v1
	v_mov_b32_e32 v9, s9
	v_mov_b32_e32 v2, v8
	v_mad_u64_u32 v[1:2], s[0:1], s11, v1, v[2:3]
	v_mov_b32_e32 v3, 0
	ds_read_b32 v6, v3 offset:64
	v_mov_b32_e32 v8, v1
	v_lshlrev_b64 v[1:2], 2, v[7:8]
	s_mov_b64 s[2:3], 0
	v_add_co_u32_e32 v7, vcc, s8, v1
	v_addc_co_u32_e32 v8, vcc, v9, v2, vcc
	v_mov_b32_e32 v9, s13
	v_mov_b32_e32 v10, s15
.LBB6_14:                               ; =>This Inner Loop Header: Depth=1
	v_add_u32_e32 v2, v5, v0
	v_lshlrev_b64 v[11:12], 2, v[2:3]
	v_ashrrev_i32_e32 v1, 31, v0
	v_lshlrev_b64 v[1:2], 2, v[0:1]
	v_add_co_u32_e32 v11, vcc, s12, v11
	v_addc_co_u32_e32 v12, vcc, v9, v12, vcc
	v_add_co_u32_e32 v13, vcc, s14, v1
	v_addc_co_u32_e32 v14, vcc, v10, v2, vcc
	global_load_dword v15, v[11:12], off
	global_load_dword v16, v[13:14], off
	v_add_u32_e32 v0, v0, v4
	v_cmp_le_i32_e32 vcc, s18, v0
	v_add_co_u32_e64 v1, s[0:1], v7, v1
	v_addc_co_u32_e64 v2, s[0:1], v8, v2, s[0:1]
	s_or_b64 s[2:3], vcc, s[2:3]
	s_waitcnt vmcnt(1) lgkmcnt(0)
	v_mul_f32_e32 v11, v15, v6
	s_waitcnt vmcnt(0)
	v_mul_f32_e32 v11, v11, v16
	global_store_dword v[1:2], v11, off
	s_andn2_b64 exec, exec, s[2:3]
	s_cbranch_execnz .LBB6_14
.LBB6_15:
	s_endpgm
	.section	.rodata,"a",@progbits
	.p2align	6, 0x0
	.amdhsa_kernel _ZN4vllm25fused_add_rms_norm_kernelIfLi0EEENSt9enable_ifIXooeqT0_Li0Entsr12_typeConvertIT_EE6existsEvE4typeEPS2_lS5_PKS2_fii
		.amdhsa_group_segment_fixed_size 68
		.amdhsa_private_segment_fixed_size 0
		.amdhsa_kernarg_size 304
		.amdhsa_user_sgpr_count 6
		.amdhsa_user_sgpr_private_segment_buffer 1
		.amdhsa_user_sgpr_dispatch_ptr 0
		.amdhsa_user_sgpr_queue_ptr 0
		.amdhsa_user_sgpr_kernarg_segment_ptr 1
		.amdhsa_user_sgpr_dispatch_id 0
		.amdhsa_user_sgpr_flat_scratch_init 0
		.amdhsa_user_sgpr_private_segment_size 0
		.amdhsa_uses_dynamic_stack 0
		.amdhsa_system_sgpr_private_segment_wavefront_offset 0
		.amdhsa_system_sgpr_workgroup_id_x 1
		.amdhsa_system_sgpr_workgroup_id_y 0
		.amdhsa_system_sgpr_workgroup_id_z 0
		.amdhsa_system_sgpr_workgroup_info 0
		.amdhsa_system_vgpr_workitem_id 0
		.amdhsa_next_free_vgpr 17
		.amdhsa_next_free_sgpr 22
		.amdhsa_reserve_vcc 1
		.amdhsa_reserve_flat_scratch 0
		.amdhsa_float_round_mode_32 0
		.amdhsa_float_round_mode_16_64 0
		.amdhsa_float_denorm_mode_32 3
		.amdhsa_float_denorm_mode_16_64 3
		.amdhsa_dx10_clamp 1
		.amdhsa_ieee_mode 1
		.amdhsa_fp16_overflow 0
		.amdhsa_exception_fp_ieee_invalid_op 0
		.amdhsa_exception_fp_denorm_src 0
		.amdhsa_exception_fp_ieee_div_zero 0
		.amdhsa_exception_fp_ieee_overflow 0
		.amdhsa_exception_fp_ieee_underflow 0
		.amdhsa_exception_fp_ieee_inexact 0
		.amdhsa_exception_int_div_zero 0
	.end_amdhsa_kernel
	.section	.text._ZN4vllm25fused_add_rms_norm_kernelIfLi0EEENSt9enable_ifIXooeqT0_Li0Entsr12_typeConvertIT_EE6existsEvE4typeEPS2_lS5_PKS2_fii,"axG",@progbits,_ZN4vllm25fused_add_rms_norm_kernelIfLi0EEENSt9enable_ifIXooeqT0_Li0Entsr12_typeConvertIT_EE6existsEvE4typeEPS2_lS5_PKS2_fii,comdat
.Lfunc_end6:
	.size	_ZN4vllm25fused_add_rms_norm_kernelIfLi0EEENSt9enable_ifIXooeqT0_Li0Entsr12_typeConvertIT_EE6existsEvE4typeEPS2_lS5_PKS2_fii, .Lfunc_end6-_ZN4vllm25fused_add_rms_norm_kernelIfLi0EEENSt9enable_ifIXooeqT0_Li0Entsr12_typeConvertIT_EE6existsEvE4typeEPS2_lS5_PKS2_fii
                                        ; -- End function
	.set _ZN4vllm25fused_add_rms_norm_kernelIfLi0EEENSt9enable_ifIXooeqT0_Li0Entsr12_typeConvertIT_EE6existsEvE4typeEPS2_lS5_PKS2_fii.num_vgpr, 17
	.set _ZN4vllm25fused_add_rms_norm_kernelIfLi0EEENSt9enable_ifIXooeqT0_Li0Entsr12_typeConvertIT_EE6existsEvE4typeEPS2_lS5_PKS2_fii.num_agpr, 0
	.set _ZN4vllm25fused_add_rms_norm_kernelIfLi0EEENSt9enable_ifIXooeqT0_Li0Entsr12_typeConvertIT_EE6existsEvE4typeEPS2_lS5_PKS2_fii.numbered_sgpr, 22
	.set _ZN4vllm25fused_add_rms_norm_kernelIfLi0EEENSt9enable_ifIXooeqT0_Li0Entsr12_typeConvertIT_EE6existsEvE4typeEPS2_lS5_PKS2_fii.num_named_barrier, 0
	.set _ZN4vllm25fused_add_rms_norm_kernelIfLi0EEENSt9enable_ifIXooeqT0_Li0Entsr12_typeConvertIT_EE6existsEvE4typeEPS2_lS5_PKS2_fii.private_seg_size, 0
	.set _ZN4vllm25fused_add_rms_norm_kernelIfLi0EEENSt9enable_ifIXooeqT0_Li0Entsr12_typeConvertIT_EE6existsEvE4typeEPS2_lS5_PKS2_fii.uses_vcc, 1
	.set _ZN4vllm25fused_add_rms_norm_kernelIfLi0EEENSt9enable_ifIXooeqT0_Li0Entsr12_typeConvertIT_EE6existsEvE4typeEPS2_lS5_PKS2_fii.uses_flat_scratch, 0
	.set _ZN4vllm25fused_add_rms_norm_kernelIfLi0EEENSt9enable_ifIXooeqT0_Li0Entsr12_typeConvertIT_EE6existsEvE4typeEPS2_lS5_PKS2_fii.has_dyn_sized_stack, 0
	.set _ZN4vllm25fused_add_rms_norm_kernelIfLi0EEENSt9enable_ifIXooeqT0_Li0Entsr12_typeConvertIT_EE6existsEvE4typeEPS2_lS5_PKS2_fii.has_recursion, 0
	.set _ZN4vllm25fused_add_rms_norm_kernelIfLi0EEENSt9enable_ifIXooeqT0_Li0Entsr12_typeConvertIT_EE6existsEvE4typeEPS2_lS5_PKS2_fii.has_indirect_call, 0
	.section	.AMDGPU.csdata,"",@progbits
; Kernel info:
; codeLenInByte = 1252
; TotalNumSgprs: 26
; NumVgprs: 17
; ScratchSize: 0
; MemoryBound: 0
; FloatMode: 240
; IeeeMode: 1
; LDSByteSize: 68 bytes/workgroup (compile time only)
; SGPRBlocks: 3
; VGPRBlocks: 4
; NumSGPRsForWavesPerEU: 26
; NumVGPRsForWavesPerEU: 17
; Occupancy: 10
; WaveLimiterHint : 0
; COMPUTE_PGM_RSRC2:SCRATCH_EN: 0
; COMPUTE_PGM_RSRC2:USER_SGPR: 6
; COMPUTE_PGM_RSRC2:TRAP_HANDLER: 0
; COMPUTE_PGM_RSRC2:TGID_X_EN: 1
; COMPUTE_PGM_RSRC2:TGID_Y_EN: 0
; COMPUTE_PGM_RSRC2:TGID_Z_EN: 0
; COMPUTE_PGM_RSRC2:TIDIG_COMP_CNT: 0
	.section	.text._ZN4vllm25fused_add_rms_norm_kernelIN3c104HalfELi0EEENSt9enable_ifIXooeqT0_Li0Entsr12_typeConvertIT_EE6existsEvE4typeEPS4_lS7_PKS4_fii,"axG",@progbits,_ZN4vllm25fused_add_rms_norm_kernelIN3c104HalfELi0EEENSt9enable_ifIXooeqT0_Li0Entsr12_typeConvertIT_EE6existsEvE4typeEPS4_lS7_PKS4_fii,comdat
	.protected	_ZN4vllm25fused_add_rms_norm_kernelIN3c104HalfELi0EEENSt9enable_ifIXooeqT0_Li0Entsr12_typeConvertIT_EE6existsEvE4typeEPS4_lS7_PKS4_fii ; -- Begin function _ZN4vllm25fused_add_rms_norm_kernelIN3c104HalfELi0EEENSt9enable_ifIXooeqT0_Li0Entsr12_typeConvertIT_EE6existsEvE4typeEPS4_lS7_PKS4_fii
	.globl	_ZN4vllm25fused_add_rms_norm_kernelIN3c104HalfELi0EEENSt9enable_ifIXooeqT0_Li0Entsr12_typeConvertIT_EE6existsEvE4typeEPS4_lS7_PKS4_fii
	.p2align	8
	.type	_ZN4vllm25fused_add_rms_norm_kernelIN3c104HalfELi0EEENSt9enable_ifIXooeqT0_Li0Entsr12_typeConvertIT_EE6existsEvE4typeEPS4_lS7_PKS4_fii,@function
_ZN4vllm25fused_add_rms_norm_kernelIN3c104HalfELi0EEENSt9enable_ifIXooeqT0_Li0Entsr12_typeConvertIT_EE6existsEvE4typeEPS4_lS7_PKS4_fii: ; @_ZN4vllm25fused_add_rms_norm_kernelIN3c104HalfELi0EEENSt9enable_ifIXooeqT0_Li0Entsr12_typeConvertIT_EE6existsEvE4typeEPS4_lS7_PKS4_fii
; %bb.0:
	s_load_dword s18, s[4:5], 0x28
	s_load_dwordx4 s[8:11], s[4:5], 0x0
	s_load_dwordx2 s[12:13], s[4:5], 0x10
                                        ; implicit-def: $sgpr7
	s_waitcnt lgkmcnt(0)
	v_cmp_gt_i32_e64 s[0:1], s18, v0
	v_cmp_le_i32_e32 vcc, s18, v0
	s_and_saveexec_b64 s[2:3], vcc
	s_xor_b64 s[2:3], exec, s[2:3]
	s_cbranch_execz .LBB7_2
; %bb.1:
	s_load_dword s7, s[4:5], 0x3c
	s_waitcnt lgkmcnt(0)
	s_and_b32 s7, s7, 0xffff
.LBB7_2:
	s_or_saveexec_b64 s[2:3], s[2:3]
	s_load_dwordx2 s[14:15], s[4:5], 0x18
	v_mov_b32_e32 v5, 0
	v_mov_b32_e32 v1, s6
	;; [unrolled: 1-line block ×3, first 2 shown]
	s_xor_b64 exec, exec, s[2:3]
	s_cbranch_execz .LBB7_6
; %bb.3:
	s_mul_i32 s7, s11, s6
	s_mul_hi_u32 s16, s10, s6
	s_add_i32 s17, s16, s7
	s_load_dword s7, s[4:5], 0x3c
	s_mul_i32 s16, s10, s6
	s_lshl_b64 s[16:17], s[16:17], 1
	s_add_u32 s19, s8, s16
	s_addc_u32 s21, s9, s17
	s_mul_i32 s20, s18, s6
	s_waitcnt lgkmcnt(0)
	s_and_b32 s7, s7, 0xffff
	v_mov_b32_e32 v2, 0
	s_mov_b64 s[16:17], 0
	v_mov_b32_e32 v6, s21
	v_mov_b32_e32 v7, s13
	;; [unrolled: 1-line block ×4, first 2 shown]
.LBB7_4:                                ; =>This Inner Loop Header: Depth=1
	v_ashrrev_i32_e32 v4, 31, v3
	v_lshlrev_b64 v[8:9], 1, v[3:4]
	v_add_u32_e32 v1, s20, v3
	v_add_co_u32_e32 v8, vcc, s19, v8
	v_addc_co_u32_e32 v9, vcc, v6, v9, vcc
	global_load_ushort v4, v[8:9], off
	v_lshlrev_b64 v[8:9], 1, v[1:2]
	v_add_u32_e32 v3, s7, v3
	v_add_co_u32_e32 v8, vcc, s12, v8
	v_addc_co_u32_e32 v9, vcc, v7, v9, vcc
	global_load_ushort v1, v[8:9], off
	v_cmp_le_i32_e32 vcc, s18, v3
	s_or_b64 s[16:17], vcc, s[16:17]
	s_waitcnt vmcnt(0)
	v_add_f16_e32 v1, v4, v1
	v_fma_mix_f32 v5, v1, v1, v5 op_sel_hi:[1,1,0]
	global_store_short v[8:9], v1, off
	s_andn2_b64 exec, exec, s[16:17]
	s_cbranch_execnz .LBB7_4
; %bb.5:
	s_or_b64 exec, exec, s[16:17]
	v_mov_b32_e32 v1, s6
	v_mov_b32_e32 v4, s7
.LBB7_6:
	s_or_b64 exec, exec, s[2:3]
	v_mbcnt_lo_u32_b32 v2, -1, 0
	v_mbcnt_hi_u32_b32 v2, -1, v2
	v_and_b32_e32 v3, 63, v2
	v_cmp_ne_u32_e32 vcc, 63, v3
	v_addc_co_u32_e32 v6, vcc, 0, v2, vcc
	v_lshlrev_b32_e32 v6, 2, v6
	ds_bpermute_b32 v6, v6, v5
	v_and_b32_e32 v7, 0x3c0, v0
	v_sub_u32_e64 v7, v4, v7 clamp
	v_add_u32_e32 v8, 1, v2
	v_cmp_lt_u32_e32 vcc, v8, v7
	s_waitcnt lgkmcnt(0)
	v_add_f32_e32 v6, v5, v6
	v_cndmask_b32_e32 v5, v5, v6, vcc
	v_cmp_gt_u32_e32 vcc, 62, v3
	v_cndmask_b32_e64 v6, 0, 2, vcc
	v_add_lshl_u32 v6, v6, v2, 2
	ds_bpermute_b32 v6, v6, v5
	v_add_u32_e32 v8, 2, v2
	v_cmp_lt_u32_e32 vcc, v8, v7
	v_add_u32_e32 v8, 4, v2
	s_waitcnt lgkmcnt(0)
	v_add_f32_e32 v6, v5, v6
	v_cndmask_b32_e32 v5, v5, v6, vcc
	v_cmp_gt_u32_e32 vcc, 60, v3
	v_cndmask_b32_e64 v6, 0, 4, vcc
	v_add_lshl_u32 v6, v6, v2, 2
	ds_bpermute_b32 v6, v6, v5
	v_cmp_lt_u32_e32 vcc, v8, v7
	v_add_u32_e32 v8, 8, v2
	s_waitcnt lgkmcnt(0)
	v_add_f32_e32 v6, v5, v6
	v_cndmask_b32_e32 v5, v5, v6, vcc
	v_cmp_gt_u32_e32 vcc, 56, v3
	v_cndmask_b32_e64 v6, 0, 8, vcc
	v_add_lshl_u32 v6, v6, v2, 2
	ds_bpermute_b32 v6, v6, v5
	;; [unrolled: 9-line block ×3, first 2 shown]
	v_add_u32_e32 v6, 16, v2
	v_cmp_lt_u32_e32 vcc, v6, v7
	s_waitcnt lgkmcnt(0)
	v_add_f32_e32 v3, v5, v3
	v_cndmask_b32_e32 v5, v5, v3, vcc
	v_lshlrev_b32_e32 v3, 2, v2
	v_or_b32_e32 v6, 0x80, v3
	ds_bpermute_b32 v6, v6, v5
	v_cmp_lt_u32_e32 vcc, v8, v7
	s_waitcnt lgkmcnt(0)
	v_add_f32_e32 v6, v5, v6
	v_cndmask_b32_e32 v5, v5, v6, vcc
	v_cmp_eq_u32_e32 vcc, 0, v2
	s_and_saveexec_b64 s[2:3], vcc
; %bb.7:
	v_lshrrev_b32_e32 v6, 4, v0
	v_and_b32_e32 v6, 60, v6
	ds_write_b32 v6, v5
; %bb.8:
	s_or_b64 exec, exec, s[2:3]
	v_cmp_gt_u32_e32 vcc, 16, v0
	s_waitcnt vmcnt(0) lgkmcnt(0)
	s_barrier
	s_and_saveexec_b64 s[6:7], vcc
	s_cbranch_execz .LBB7_10
; %bb.9:
	ds_read_b32 v5, v3
	v_and_b32_e32 v6, 15, v2
	v_cmp_ne_u32_e32 vcc, 15, v6
	v_addc_co_u32_e32 v7, vcc, 0, v2, vcc
	v_lshlrev_b32_e32 v7, 2, v7
	s_waitcnt lgkmcnt(0)
	ds_bpermute_b32 v7, v7, v5
	v_add_u32_e32 v8, 63, v4
	v_lshrrev_b32_e32 v8, 6, v8
	v_add_u32_e32 v9, 1, v6
	v_cmp_gt_u32_e64 s[2:3], 14, v6
	s_waitcnt lgkmcnt(0)
	v_add_f32_e32 v7, v5, v7
	v_cmp_lt_u32_e32 vcc, v9, v8
	v_cndmask_b32_e64 v9, 0, 2, s[2:3]
	v_cndmask_b32_e32 v7, v5, v7, vcc
	v_add_lshl_u32 v9, v9, v2, 2
	ds_bpermute_b32 v9, v9, v7
	v_add_u32_e32 v10, 2, v6
	v_cmp_lt_u32_e64 s[2:3], v10, v8
	v_or_b32_e32 v3, 32, v3
	s_waitcnt lgkmcnt(0)
	v_add_f32_e32 v9, v7, v9
	v_cndmask_b32_e64 v7, v7, v9, s[2:3]
	v_cmp_gt_u32_e64 s[2:3], 12, v6
	v_cndmask_b32_e64 v9, 0, 4, s[2:3]
	v_add_lshl_u32 v2, v9, v2, 2
	ds_bpermute_b32 v2, v2, v7
	v_add_u32_e32 v9, 4, v6
	v_cmp_lt_u32_e64 s[2:3], v9, v8
	v_add_u32_e32 v6, 8, v6
	s_waitcnt lgkmcnt(0)
	v_add_f32_e32 v2, v7, v2
	v_cndmask_b32_e64 v2, v7, v2, s[2:3]
	ds_bpermute_b32 v3, v3, v2
	v_cmp_lt_u32_e64 s[2:3], v6, v8
	s_waitcnt lgkmcnt(0)
	v_add_f32_e32 v3, v2, v3
	v_cndmask_b32_e64 v2, v2, v3, s[2:3]
	v_cndmask_b32_e32 v5, v5, v2, vcc
.LBB7_10:
	s_or_b64 exec, exec, s[6:7]
	v_cmp_eq_u32_e32 vcc, 0, v0
	s_and_saveexec_b64 s[2:3], vcc
	s_cbranch_execz .LBB7_12
; %bb.11:
	v_cvt_f32_i32_e32 v2, s18
	s_load_dword s4, s[4:5], 0x20
	s_mov_b32 s5, 0x800000
	v_div_scale_f32 v3, s[6:7], v2, v2, v5
	v_div_scale_f32 v6, vcc, v5, v2, v5
	v_rcp_f32_e32 v7, v3
	v_fma_f32 v8, -v3, v7, 1.0
	v_fmac_f32_e32 v7, v8, v7
	v_mul_f32_e32 v8, v6, v7
	v_fma_f32 v9, -v3, v8, v6
	v_fmac_f32_e32 v8, v9, v7
	v_fma_f32 v3, -v3, v8, v6
	v_div_fmas_f32 v3, v3, v7, v8
	v_div_fixup_f32 v2, v3, v2, v5
	s_waitcnt lgkmcnt(0)
	v_add_f32_e32 v2, s4, v2
	v_mul_f32_e32 v3, 0x4b800000, v2
	v_cmp_gt_f32_e32 vcc, s5, v2
	v_cndmask_b32_e32 v2, v2, v3, vcc
	v_rsq_f32_e32 v2, v2
	v_mul_f32_e32 v3, 0x45800000, v2
	v_cndmask_b32_e32 v2, v2, v3, vcc
	v_mov_b32_e32 v3, 0
	ds_write_b32 v3, v2 offset:64
.LBB7_12:
	s_or_b64 exec, exec, s[2:3]
	s_waitcnt lgkmcnt(0)
	s_barrier
	s_and_saveexec_b64 s[2:3], s[0:1]
	s_cbranch_execz .LBB7_15
; %bb.13:
	v_mad_u64_u32 v[7:8], s[0:1], s10, v1, 0
	v_mul_lo_u32 v5, s18, v1
	v_mov_b32_e32 v9, s9
	v_mov_b32_e32 v2, v8
	v_mad_u64_u32 v[1:2], s[0:1], s11, v1, v[2:3]
	v_mov_b32_e32 v3, 0
	ds_read_b32 v6, v3 offset:64
	v_mov_b32_e32 v8, v1
	v_lshlrev_b64 v[1:2], 1, v[7:8]
	s_mov_b64 s[2:3], 0
	v_add_co_u32_e32 v7, vcc, s8, v1
	v_addc_co_u32_e32 v8, vcc, v9, v2, vcc
	v_mov_b32_e32 v9, s13
	v_mov_b32_e32 v10, s15
.LBB7_14:                               ; =>This Inner Loop Header: Depth=1
	v_add_u32_e32 v2, v5, v0
	v_lshlrev_b64 v[11:12], 1, v[2:3]
	v_ashrrev_i32_e32 v1, 31, v0
	v_lshlrev_b64 v[1:2], 1, v[0:1]
	v_add_co_u32_e32 v11, vcc, s12, v11
	v_addc_co_u32_e32 v12, vcc, v9, v12, vcc
	v_add_co_u32_e32 v13, vcc, s14, v1
	v_addc_co_u32_e32 v14, vcc, v10, v2, vcc
	global_load_ushort v15, v[11:12], off
	global_load_ushort v16, v[13:14], off
	v_add_u32_e32 v0, v0, v4
	v_cmp_le_i32_e32 vcc, s18, v0
	v_add_co_u32_e64 v1, s[0:1], v7, v1
	v_addc_co_u32_e64 v2, s[0:1], v8, v2, s[0:1]
	s_or_b64 s[2:3], vcc, s[2:3]
	s_waitcnt vmcnt(1) lgkmcnt(0)
	v_fma_mixlo_f16 v11, v6, v15, 0 op_sel_hi:[0,1,0]
	s_waitcnt vmcnt(0)
	v_mul_f16_e32 v11, v16, v11
	global_store_short v[1:2], v11, off
	s_andn2_b64 exec, exec, s[2:3]
	s_cbranch_execnz .LBB7_14
.LBB7_15:
	s_endpgm
	.section	.rodata,"a",@progbits
	.p2align	6, 0x0
	.amdhsa_kernel _ZN4vllm25fused_add_rms_norm_kernelIN3c104HalfELi0EEENSt9enable_ifIXooeqT0_Li0Entsr12_typeConvertIT_EE6existsEvE4typeEPS4_lS7_PKS4_fii
		.amdhsa_group_segment_fixed_size 68
		.amdhsa_private_segment_fixed_size 0
		.amdhsa_kernarg_size 304
		.amdhsa_user_sgpr_count 6
		.amdhsa_user_sgpr_private_segment_buffer 1
		.amdhsa_user_sgpr_dispatch_ptr 0
		.amdhsa_user_sgpr_queue_ptr 0
		.amdhsa_user_sgpr_kernarg_segment_ptr 1
		.amdhsa_user_sgpr_dispatch_id 0
		.amdhsa_user_sgpr_flat_scratch_init 0
		.amdhsa_user_sgpr_private_segment_size 0
		.amdhsa_uses_dynamic_stack 0
		.amdhsa_system_sgpr_private_segment_wavefront_offset 0
		.amdhsa_system_sgpr_workgroup_id_x 1
		.amdhsa_system_sgpr_workgroup_id_y 0
		.amdhsa_system_sgpr_workgroup_id_z 0
		.amdhsa_system_sgpr_workgroup_info 0
		.amdhsa_system_vgpr_workitem_id 0
		.amdhsa_next_free_vgpr 17
		.amdhsa_next_free_sgpr 22
		.amdhsa_reserve_vcc 1
		.amdhsa_reserve_flat_scratch 0
		.amdhsa_float_round_mode_32 0
		.amdhsa_float_round_mode_16_64 0
		.amdhsa_float_denorm_mode_32 3
		.amdhsa_float_denorm_mode_16_64 3
		.amdhsa_dx10_clamp 1
		.amdhsa_ieee_mode 1
		.amdhsa_fp16_overflow 0
		.amdhsa_exception_fp_ieee_invalid_op 0
		.amdhsa_exception_fp_denorm_src 0
		.amdhsa_exception_fp_ieee_div_zero 0
		.amdhsa_exception_fp_ieee_overflow 0
		.amdhsa_exception_fp_ieee_underflow 0
		.amdhsa_exception_fp_ieee_inexact 0
		.amdhsa_exception_int_div_zero 0
	.end_amdhsa_kernel
	.section	.text._ZN4vllm25fused_add_rms_norm_kernelIN3c104HalfELi0EEENSt9enable_ifIXooeqT0_Li0Entsr12_typeConvertIT_EE6existsEvE4typeEPS4_lS7_PKS4_fii,"axG",@progbits,_ZN4vllm25fused_add_rms_norm_kernelIN3c104HalfELi0EEENSt9enable_ifIXooeqT0_Li0Entsr12_typeConvertIT_EE6existsEvE4typeEPS4_lS7_PKS4_fii,comdat
.Lfunc_end7:
	.size	_ZN4vllm25fused_add_rms_norm_kernelIN3c104HalfELi0EEENSt9enable_ifIXooeqT0_Li0Entsr12_typeConvertIT_EE6existsEvE4typeEPS4_lS7_PKS4_fii, .Lfunc_end7-_ZN4vllm25fused_add_rms_norm_kernelIN3c104HalfELi0EEENSt9enable_ifIXooeqT0_Li0Entsr12_typeConvertIT_EE6existsEvE4typeEPS4_lS7_PKS4_fii
                                        ; -- End function
	.set _ZN4vllm25fused_add_rms_norm_kernelIN3c104HalfELi0EEENSt9enable_ifIXooeqT0_Li0Entsr12_typeConvertIT_EE6existsEvE4typeEPS4_lS7_PKS4_fii.num_vgpr, 17
	.set _ZN4vllm25fused_add_rms_norm_kernelIN3c104HalfELi0EEENSt9enable_ifIXooeqT0_Li0Entsr12_typeConvertIT_EE6existsEvE4typeEPS4_lS7_PKS4_fii.num_agpr, 0
	.set _ZN4vllm25fused_add_rms_norm_kernelIN3c104HalfELi0EEENSt9enable_ifIXooeqT0_Li0Entsr12_typeConvertIT_EE6existsEvE4typeEPS4_lS7_PKS4_fii.numbered_sgpr, 22
	.set _ZN4vllm25fused_add_rms_norm_kernelIN3c104HalfELi0EEENSt9enable_ifIXooeqT0_Li0Entsr12_typeConvertIT_EE6existsEvE4typeEPS4_lS7_PKS4_fii.num_named_barrier, 0
	.set _ZN4vllm25fused_add_rms_norm_kernelIN3c104HalfELi0EEENSt9enable_ifIXooeqT0_Li0Entsr12_typeConvertIT_EE6existsEvE4typeEPS4_lS7_PKS4_fii.private_seg_size, 0
	.set _ZN4vllm25fused_add_rms_norm_kernelIN3c104HalfELi0EEENSt9enable_ifIXooeqT0_Li0Entsr12_typeConvertIT_EE6existsEvE4typeEPS4_lS7_PKS4_fii.uses_vcc, 1
	.set _ZN4vllm25fused_add_rms_norm_kernelIN3c104HalfELi0EEENSt9enable_ifIXooeqT0_Li0Entsr12_typeConvertIT_EE6existsEvE4typeEPS4_lS7_PKS4_fii.uses_flat_scratch, 0
	.set _ZN4vllm25fused_add_rms_norm_kernelIN3c104HalfELi0EEENSt9enable_ifIXooeqT0_Li0Entsr12_typeConvertIT_EE6existsEvE4typeEPS4_lS7_PKS4_fii.has_dyn_sized_stack, 0
	.set _ZN4vllm25fused_add_rms_norm_kernelIN3c104HalfELi0EEENSt9enable_ifIXooeqT0_Li0Entsr12_typeConvertIT_EE6existsEvE4typeEPS4_lS7_PKS4_fii.has_recursion, 0
	.set _ZN4vllm25fused_add_rms_norm_kernelIN3c104HalfELi0EEENSt9enable_ifIXooeqT0_Li0Entsr12_typeConvertIT_EE6existsEvE4typeEPS4_lS7_PKS4_fii.has_indirect_call, 0
	.section	.AMDGPU.csdata,"",@progbits
; Kernel info:
; codeLenInByte = 1260
; TotalNumSgprs: 26
; NumVgprs: 17
; ScratchSize: 0
; MemoryBound: 0
; FloatMode: 240
; IeeeMode: 1
; LDSByteSize: 68 bytes/workgroup (compile time only)
; SGPRBlocks: 3
; VGPRBlocks: 4
; NumSGPRsForWavesPerEU: 26
; NumVGPRsForWavesPerEU: 17
; Occupancy: 10
; WaveLimiterHint : 0
; COMPUTE_PGM_RSRC2:SCRATCH_EN: 0
; COMPUTE_PGM_RSRC2:USER_SGPR: 6
; COMPUTE_PGM_RSRC2:TRAP_HANDLER: 0
; COMPUTE_PGM_RSRC2:TGID_X_EN: 1
; COMPUTE_PGM_RSRC2:TGID_Y_EN: 0
; COMPUTE_PGM_RSRC2:TGID_Z_EN: 0
; COMPUTE_PGM_RSRC2:TIDIG_COMP_CNT: 0
	.section	.text._ZN4vllm25fused_add_rms_norm_kernelIN3c108BFloat16ELi0EEENSt9enable_ifIXooeqT0_Li0Entsr12_typeConvertIT_EE6existsEvE4typeEPS4_lS7_PKS4_fii,"axG",@progbits,_ZN4vllm25fused_add_rms_norm_kernelIN3c108BFloat16ELi0EEENSt9enable_ifIXooeqT0_Li0Entsr12_typeConvertIT_EE6existsEvE4typeEPS4_lS7_PKS4_fii,comdat
	.protected	_ZN4vllm25fused_add_rms_norm_kernelIN3c108BFloat16ELi0EEENSt9enable_ifIXooeqT0_Li0Entsr12_typeConvertIT_EE6existsEvE4typeEPS4_lS7_PKS4_fii ; -- Begin function _ZN4vllm25fused_add_rms_norm_kernelIN3c108BFloat16ELi0EEENSt9enable_ifIXooeqT0_Li0Entsr12_typeConvertIT_EE6existsEvE4typeEPS4_lS7_PKS4_fii
	.globl	_ZN4vllm25fused_add_rms_norm_kernelIN3c108BFloat16ELi0EEENSt9enable_ifIXooeqT0_Li0Entsr12_typeConvertIT_EE6existsEvE4typeEPS4_lS7_PKS4_fii
	.p2align	8
	.type	_ZN4vllm25fused_add_rms_norm_kernelIN3c108BFloat16ELi0EEENSt9enable_ifIXooeqT0_Li0Entsr12_typeConvertIT_EE6existsEvE4typeEPS4_lS7_PKS4_fii,@function
_ZN4vllm25fused_add_rms_norm_kernelIN3c108BFloat16ELi0EEENSt9enable_ifIXooeqT0_Li0Entsr12_typeConvertIT_EE6existsEvE4typeEPS4_lS7_PKS4_fii: ; @_ZN4vllm25fused_add_rms_norm_kernelIN3c108BFloat16ELi0EEENSt9enable_ifIXooeqT0_Li0Entsr12_typeConvertIT_EE6existsEvE4typeEPS4_lS7_PKS4_fii
; %bb.0:
	s_load_dword s18, s[4:5], 0x28
	s_load_dwordx4 s[8:11], s[4:5], 0x0
	s_load_dwordx2 s[12:13], s[4:5], 0x10
                                        ; implicit-def: $sgpr7
	s_waitcnt lgkmcnt(0)
	v_cmp_gt_i32_e64 s[0:1], s18, v0
	v_cmp_le_i32_e32 vcc, s18, v0
	s_and_saveexec_b64 s[2:3], vcc
	s_xor_b64 s[2:3], exec, s[2:3]
	s_cbranch_execz .LBB8_2
; %bb.1:
	s_load_dword s7, s[4:5], 0x3c
	s_waitcnt lgkmcnt(0)
	s_and_b32 s7, s7, 0xffff
.LBB8_2:
	s_or_saveexec_b64 s[2:3], s[2:3]
	s_load_dwordx2 s[14:15], s[4:5], 0x18
	v_mov_b32_e32 v5, 0
	v_mov_b32_e32 v1, s6
	v_mov_b32_e32 v4, s7
	s_xor_b64 exec, exec, s[2:3]
	s_cbranch_execz .LBB8_6
; %bb.3:
	s_mul_i32 s7, s11, s6
	s_mul_hi_u32 s16, s10, s6
	s_add_i32 s17, s16, s7
	s_load_dword s7, s[4:5], 0x3c
	s_mul_i32 s16, s10, s6
	s_lshl_b64 s[16:17], s[16:17], 1
	s_add_u32 s19, s8, s16
	s_addc_u32 s21, s9, s17
	s_mul_i32 s20, s18, s6
	s_waitcnt lgkmcnt(0)
	s_and_b32 s7, s7, 0xffff
	v_mov_b32_e32 v2, 0
	s_mov_b64 s[16:17], 0
	v_mov_b32_e32 v6, s21
	v_mov_b32_e32 v7, s13
	s_movk_i32 s21, 0x7fff
	v_mov_b32_e32 v8, 0x7fc0
	v_mov_b32_e32 v5, 0
	;; [unrolled: 1-line block ×3, first 2 shown]
.LBB8_4:                                ; =>This Inner Loop Header: Depth=1
	v_ashrrev_i32_e32 v4, 31, v3
	v_lshlrev_b64 v[9:10], 1, v[3:4]
	v_add_u32_e32 v1, s20, v3
	v_add_co_u32_e32 v9, vcc, s19, v9
	v_lshlrev_b64 v[11:12], 1, v[1:2]
	v_addc_co_u32_e32 v10, vcc, v6, v10, vcc
	v_add_co_u32_e32 v11, vcc, s12, v11
	v_addc_co_u32_e32 v12, vcc, v7, v12, vcc
	global_load_ushort v1, v[11:12], off
	global_load_ushort v4, v[9:10], off
	v_add_u32_e32 v3, s7, v3
	v_cmp_le_i32_e32 vcc, s18, v3
	s_or_b64 s[16:17], vcc, s[16:17]
	s_waitcnt vmcnt(1)
	v_lshlrev_b32_e32 v1, 16, v1
	s_waitcnt vmcnt(0)
	v_lshlrev_b32_e32 v4, 16, v4
	v_add_f32_e32 v1, v4, v1
	v_bfe_u32 v4, v1, 16, 1
	v_cmp_o_f32_e32 vcc, v1, v1
	v_add3_u32 v1, v1, v4, s21
	v_cndmask_b32_sdwa v1, v8, v1, vcc dst_sel:DWORD dst_unused:UNUSED_PAD src0_sel:DWORD src1_sel:WORD_1
	v_lshlrev_b32_e32 v4, 16, v1
	v_fmac_f32_e32 v5, v4, v4
	global_store_short v[11:12], v1, off
	s_andn2_b64 exec, exec, s[16:17]
	s_cbranch_execnz .LBB8_4
; %bb.5:
	s_or_b64 exec, exec, s[16:17]
	v_mov_b32_e32 v1, s6
	v_mov_b32_e32 v4, s7
.LBB8_6:
	s_or_b64 exec, exec, s[2:3]
	v_mbcnt_lo_u32_b32 v2, -1, 0
	v_mbcnt_hi_u32_b32 v2, -1, v2
	v_and_b32_e32 v3, 63, v2
	v_cmp_ne_u32_e32 vcc, 63, v3
	v_addc_co_u32_e32 v6, vcc, 0, v2, vcc
	v_lshlrev_b32_e32 v6, 2, v6
	ds_bpermute_b32 v6, v6, v5
	v_and_b32_e32 v7, 0x3c0, v0
	v_sub_u32_e64 v7, v4, v7 clamp
	v_add_u32_e32 v8, 1, v2
	v_cmp_lt_u32_e32 vcc, v8, v7
	s_waitcnt lgkmcnt(0)
	v_add_f32_e32 v6, v5, v6
	v_cndmask_b32_e32 v5, v5, v6, vcc
	v_cmp_gt_u32_e32 vcc, 62, v3
	v_cndmask_b32_e64 v6, 0, 2, vcc
	v_add_lshl_u32 v6, v6, v2, 2
	ds_bpermute_b32 v6, v6, v5
	v_add_u32_e32 v8, 2, v2
	v_cmp_lt_u32_e32 vcc, v8, v7
	v_add_u32_e32 v8, 4, v2
	s_waitcnt lgkmcnt(0)
	v_add_f32_e32 v6, v5, v6
	v_cndmask_b32_e32 v5, v5, v6, vcc
	v_cmp_gt_u32_e32 vcc, 60, v3
	v_cndmask_b32_e64 v6, 0, 4, vcc
	v_add_lshl_u32 v6, v6, v2, 2
	ds_bpermute_b32 v6, v6, v5
	v_cmp_lt_u32_e32 vcc, v8, v7
	v_add_u32_e32 v8, 8, v2
	s_waitcnt lgkmcnt(0)
	v_add_f32_e32 v6, v5, v6
	v_cndmask_b32_e32 v5, v5, v6, vcc
	v_cmp_gt_u32_e32 vcc, 56, v3
	v_cndmask_b32_e64 v6, 0, 8, vcc
	v_add_lshl_u32 v6, v6, v2, 2
	ds_bpermute_b32 v6, v6, v5
	;; [unrolled: 9-line block ×3, first 2 shown]
	v_add_u32_e32 v6, 16, v2
	v_cmp_lt_u32_e32 vcc, v6, v7
	s_waitcnt lgkmcnt(0)
	v_add_f32_e32 v3, v5, v3
	v_cndmask_b32_e32 v5, v5, v3, vcc
	v_lshlrev_b32_e32 v3, 2, v2
	v_or_b32_e32 v6, 0x80, v3
	ds_bpermute_b32 v6, v6, v5
	v_cmp_lt_u32_e32 vcc, v8, v7
	s_waitcnt lgkmcnt(0)
	v_add_f32_e32 v6, v5, v6
	v_cndmask_b32_e32 v5, v5, v6, vcc
	v_cmp_eq_u32_e32 vcc, 0, v2
	s_and_saveexec_b64 s[2:3], vcc
; %bb.7:
	v_lshrrev_b32_e32 v6, 4, v0
	v_and_b32_e32 v6, 60, v6
	ds_write_b32 v6, v5
; %bb.8:
	s_or_b64 exec, exec, s[2:3]
	v_cmp_gt_u32_e32 vcc, 16, v0
	s_waitcnt vmcnt(0) lgkmcnt(0)
	s_barrier
	s_and_saveexec_b64 s[6:7], vcc
	s_cbranch_execz .LBB8_10
; %bb.9:
	ds_read_b32 v5, v3
	v_and_b32_e32 v6, 15, v2
	v_cmp_ne_u32_e32 vcc, 15, v6
	v_addc_co_u32_e32 v7, vcc, 0, v2, vcc
	v_lshlrev_b32_e32 v7, 2, v7
	s_waitcnt lgkmcnt(0)
	ds_bpermute_b32 v7, v7, v5
	v_add_u32_e32 v8, 63, v4
	v_lshrrev_b32_e32 v8, 6, v8
	v_add_u32_e32 v9, 1, v6
	v_cmp_gt_u32_e64 s[2:3], 14, v6
	s_waitcnt lgkmcnt(0)
	v_add_f32_e32 v7, v5, v7
	v_cmp_lt_u32_e32 vcc, v9, v8
	v_cndmask_b32_e64 v9, 0, 2, s[2:3]
	v_cndmask_b32_e32 v7, v5, v7, vcc
	v_add_lshl_u32 v9, v9, v2, 2
	ds_bpermute_b32 v9, v9, v7
	v_add_u32_e32 v10, 2, v6
	v_cmp_lt_u32_e64 s[2:3], v10, v8
	v_or_b32_e32 v3, 32, v3
	s_waitcnt lgkmcnt(0)
	v_add_f32_e32 v9, v7, v9
	v_cndmask_b32_e64 v7, v7, v9, s[2:3]
	v_cmp_gt_u32_e64 s[2:3], 12, v6
	v_cndmask_b32_e64 v9, 0, 4, s[2:3]
	v_add_lshl_u32 v2, v9, v2, 2
	ds_bpermute_b32 v2, v2, v7
	v_add_u32_e32 v9, 4, v6
	v_cmp_lt_u32_e64 s[2:3], v9, v8
	v_add_u32_e32 v6, 8, v6
	s_waitcnt lgkmcnt(0)
	v_add_f32_e32 v2, v7, v2
	v_cndmask_b32_e64 v2, v7, v2, s[2:3]
	ds_bpermute_b32 v3, v3, v2
	v_cmp_lt_u32_e64 s[2:3], v6, v8
	s_waitcnt lgkmcnt(0)
	v_add_f32_e32 v3, v2, v3
	v_cndmask_b32_e64 v2, v2, v3, s[2:3]
	v_cndmask_b32_e32 v5, v5, v2, vcc
.LBB8_10:
	s_or_b64 exec, exec, s[6:7]
	v_cmp_eq_u32_e32 vcc, 0, v0
	s_and_saveexec_b64 s[2:3], vcc
	s_cbranch_execz .LBB8_12
; %bb.11:
	v_cvt_f32_i32_e32 v2, s18
	s_load_dword s4, s[4:5], 0x20
	s_mov_b32 s5, 0x800000
	v_div_scale_f32 v3, s[6:7], v2, v2, v5
	v_div_scale_f32 v6, vcc, v5, v2, v5
	v_rcp_f32_e32 v7, v3
	v_fma_f32 v8, -v3, v7, 1.0
	v_fmac_f32_e32 v7, v8, v7
	v_mul_f32_e32 v8, v6, v7
	v_fma_f32 v9, -v3, v8, v6
	v_fmac_f32_e32 v8, v9, v7
	v_fma_f32 v3, -v3, v8, v6
	v_div_fmas_f32 v3, v3, v7, v8
	v_div_fixup_f32 v2, v3, v2, v5
	s_waitcnt lgkmcnt(0)
	v_add_f32_e32 v2, s4, v2
	v_mul_f32_e32 v3, 0x4b800000, v2
	v_cmp_gt_f32_e32 vcc, s5, v2
	v_cndmask_b32_e32 v2, v2, v3, vcc
	v_rsq_f32_e32 v2, v2
	v_mul_f32_e32 v3, 0x45800000, v2
	v_cndmask_b32_e32 v2, v2, v3, vcc
	v_mov_b32_e32 v3, 0
	ds_write_b32 v3, v2 offset:64
.LBB8_12:
	s_or_b64 exec, exec, s[2:3]
	s_waitcnt lgkmcnt(0)
	s_barrier
	s_and_saveexec_b64 s[2:3], s[0:1]
	s_cbranch_execz .LBB8_15
; %bb.13:
	v_mad_u64_u32 v[7:8], s[0:1], s10, v1, 0
	v_mul_lo_u32 v5, s18, v1
	v_mov_b32_e32 v9, s9
	v_mov_b32_e32 v2, v8
	v_mad_u64_u32 v[1:2], s[0:1], s11, v1, v[2:3]
	v_mov_b32_e32 v3, 0
	ds_read_b32 v6, v3 offset:64
	v_mov_b32_e32 v8, v1
	v_lshlrev_b64 v[1:2], 1, v[7:8]
	s_mov_b64 s[2:3], 0
	v_add_co_u32_e32 v7, vcc, s8, v1
	v_addc_co_u32_e32 v8, vcc, v9, v2, vcc
	v_mov_b32_e32 v9, s13
	s_movk_i32 s4, 0x7fff
	v_mov_b32_e32 v10, s15
	v_mov_b32_e32 v11, 0x7fc00000
	;; [unrolled: 1-line block ×3, first 2 shown]
.LBB8_14:                               ; =>This Inner Loop Header: Depth=1
	v_add_u32_e32 v2, v5, v0
	v_lshlrev_b64 v[13:14], 1, v[2:3]
	v_ashrrev_i32_e32 v1, 31, v0
	v_lshlrev_b64 v[1:2], 1, v[0:1]
	v_add_co_u32_e32 v13, vcc, s12, v13
	v_addc_co_u32_e32 v14, vcc, v9, v14, vcc
	v_add_co_u32_e32 v15, vcc, s14, v1
	v_addc_co_u32_e32 v16, vcc, v10, v2, vcc
	global_load_ushort v17, v[13:14], off
	global_load_ushort v18, v[15:16], off
	v_add_u32_e32 v0, v0, v4
	v_cmp_le_i32_e32 vcc, s18, v0
	s_or_b64 s[2:3], vcc, s[2:3]
	v_add_co_u32_e64 v1, s[0:1], v7, v1
	v_addc_co_u32_e64 v2, s[0:1], v8, v2, s[0:1]
	s_waitcnt vmcnt(1)
	v_lshlrev_b32_e32 v13, 16, v17
	s_waitcnt lgkmcnt(0)
	v_mul_f32_e32 v13, v6, v13
	v_bfe_u32 v15, v13, 16, 1
	v_add3_u32 v15, v13, v15, s4
	v_and_b32_e32 v15, 0xffff0000, v15
	v_cmp_o_f32_e32 vcc, v13, v13
	s_waitcnt vmcnt(0)
	v_lshlrev_b32_e32 v14, 16, v18
	v_cndmask_b32_e32 v13, v11, v15, vcc
	v_mul_f32_e32 v13, v13, v14
	v_bfe_u32 v14, v13, 16, 1
	v_cmp_o_f32_e32 vcc, v13, v13
	v_add3_u32 v13, v13, v14, s4
	v_cndmask_b32_sdwa v13, v12, v13, vcc dst_sel:DWORD dst_unused:UNUSED_PAD src0_sel:DWORD src1_sel:WORD_1
	global_store_short v[1:2], v13, off
	s_andn2_b64 exec, exec, s[2:3]
	s_cbranch_execnz .LBB8_14
.LBB8_15:
	s_endpgm
	.section	.rodata,"a",@progbits
	.p2align	6, 0x0
	.amdhsa_kernel _ZN4vllm25fused_add_rms_norm_kernelIN3c108BFloat16ELi0EEENSt9enable_ifIXooeqT0_Li0Entsr12_typeConvertIT_EE6existsEvE4typeEPS4_lS7_PKS4_fii
		.amdhsa_group_segment_fixed_size 68
		.amdhsa_private_segment_fixed_size 0
		.amdhsa_kernarg_size 304
		.amdhsa_user_sgpr_count 6
		.amdhsa_user_sgpr_private_segment_buffer 1
		.amdhsa_user_sgpr_dispatch_ptr 0
		.amdhsa_user_sgpr_queue_ptr 0
		.amdhsa_user_sgpr_kernarg_segment_ptr 1
		.amdhsa_user_sgpr_dispatch_id 0
		.amdhsa_user_sgpr_flat_scratch_init 0
		.amdhsa_user_sgpr_private_segment_size 0
		.amdhsa_uses_dynamic_stack 0
		.amdhsa_system_sgpr_private_segment_wavefront_offset 0
		.amdhsa_system_sgpr_workgroup_id_x 1
		.amdhsa_system_sgpr_workgroup_id_y 0
		.amdhsa_system_sgpr_workgroup_id_z 0
		.amdhsa_system_sgpr_workgroup_info 0
		.amdhsa_system_vgpr_workitem_id 0
		.amdhsa_next_free_vgpr 19
		.amdhsa_next_free_sgpr 22
		.amdhsa_reserve_vcc 1
		.amdhsa_reserve_flat_scratch 0
		.amdhsa_float_round_mode_32 0
		.amdhsa_float_round_mode_16_64 0
		.amdhsa_float_denorm_mode_32 3
		.amdhsa_float_denorm_mode_16_64 3
		.amdhsa_dx10_clamp 1
		.amdhsa_ieee_mode 1
		.amdhsa_fp16_overflow 0
		.amdhsa_exception_fp_ieee_invalid_op 0
		.amdhsa_exception_fp_denorm_src 0
		.amdhsa_exception_fp_ieee_div_zero 0
		.amdhsa_exception_fp_ieee_overflow 0
		.amdhsa_exception_fp_ieee_underflow 0
		.amdhsa_exception_fp_ieee_inexact 0
		.amdhsa_exception_int_div_zero 0
	.end_amdhsa_kernel
	.section	.text._ZN4vllm25fused_add_rms_norm_kernelIN3c108BFloat16ELi0EEENSt9enable_ifIXooeqT0_Li0Entsr12_typeConvertIT_EE6existsEvE4typeEPS4_lS7_PKS4_fii,"axG",@progbits,_ZN4vllm25fused_add_rms_norm_kernelIN3c108BFloat16ELi0EEENSt9enable_ifIXooeqT0_Li0Entsr12_typeConvertIT_EE6existsEvE4typeEPS4_lS7_PKS4_fii,comdat
.Lfunc_end8:
	.size	_ZN4vllm25fused_add_rms_norm_kernelIN3c108BFloat16ELi0EEENSt9enable_ifIXooeqT0_Li0Entsr12_typeConvertIT_EE6existsEvE4typeEPS4_lS7_PKS4_fii, .Lfunc_end8-_ZN4vllm25fused_add_rms_norm_kernelIN3c108BFloat16ELi0EEENSt9enable_ifIXooeqT0_Li0Entsr12_typeConvertIT_EE6existsEvE4typeEPS4_lS7_PKS4_fii
                                        ; -- End function
	.set _ZN4vllm25fused_add_rms_norm_kernelIN3c108BFloat16ELi0EEENSt9enable_ifIXooeqT0_Li0Entsr12_typeConvertIT_EE6existsEvE4typeEPS4_lS7_PKS4_fii.num_vgpr, 19
	.set _ZN4vllm25fused_add_rms_norm_kernelIN3c108BFloat16ELi0EEENSt9enable_ifIXooeqT0_Li0Entsr12_typeConvertIT_EE6existsEvE4typeEPS4_lS7_PKS4_fii.num_agpr, 0
	.set _ZN4vllm25fused_add_rms_norm_kernelIN3c108BFloat16ELi0EEENSt9enable_ifIXooeqT0_Li0Entsr12_typeConvertIT_EE6existsEvE4typeEPS4_lS7_PKS4_fii.numbered_sgpr, 22
	.set _ZN4vllm25fused_add_rms_norm_kernelIN3c108BFloat16ELi0EEENSt9enable_ifIXooeqT0_Li0Entsr12_typeConvertIT_EE6existsEvE4typeEPS4_lS7_PKS4_fii.num_named_barrier, 0
	.set _ZN4vllm25fused_add_rms_norm_kernelIN3c108BFloat16ELi0EEENSt9enable_ifIXooeqT0_Li0Entsr12_typeConvertIT_EE6existsEvE4typeEPS4_lS7_PKS4_fii.private_seg_size, 0
	.set _ZN4vllm25fused_add_rms_norm_kernelIN3c108BFloat16ELi0EEENSt9enable_ifIXooeqT0_Li0Entsr12_typeConvertIT_EE6existsEvE4typeEPS4_lS7_PKS4_fii.uses_vcc, 1
	.set _ZN4vllm25fused_add_rms_norm_kernelIN3c108BFloat16ELi0EEENSt9enable_ifIXooeqT0_Li0Entsr12_typeConvertIT_EE6existsEvE4typeEPS4_lS7_PKS4_fii.uses_flat_scratch, 0
	.set _ZN4vllm25fused_add_rms_norm_kernelIN3c108BFloat16ELi0EEENSt9enable_ifIXooeqT0_Li0Entsr12_typeConvertIT_EE6existsEvE4typeEPS4_lS7_PKS4_fii.has_dyn_sized_stack, 0
	.set _ZN4vllm25fused_add_rms_norm_kernelIN3c108BFloat16ELi0EEENSt9enable_ifIXooeqT0_Li0Entsr12_typeConvertIT_EE6existsEvE4typeEPS4_lS7_PKS4_fii.has_recursion, 0
	.set _ZN4vllm25fused_add_rms_norm_kernelIN3c108BFloat16ELi0EEENSt9enable_ifIXooeqT0_Li0Entsr12_typeConvertIT_EE6existsEvE4typeEPS4_lS7_PKS4_fii.has_indirect_call, 0
	.section	.AMDGPU.csdata,"",@progbits
; Kernel info:
; codeLenInByte = 1400
; TotalNumSgprs: 26
; NumVgprs: 19
; ScratchSize: 0
; MemoryBound: 0
; FloatMode: 240
; IeeeMode: 1
; LDSByteSize: 68 bytes/workgroup (compile time only)
; SGPRBlocks: 3
; VGPRBlocks: 4
; NumSGPRsForWavesPerEU: 26
; NumVGPRsForWavesPerEU: 19
; Occupancy: 10
; WaveLimiterHint : 0
; COMPUTE_PGM_RSRC2:SCRATCH_EN: 0
; COMPUTE_PGM_RSRC2:USER_SGPR: 6
; COMPUTE_PGM_RSRC2:TRAP_HANDLER: 0
; COMPUTE_PGM_RSRC2:TGID_X_EN: 1
; COMPUTE_PGM_RSRC2:TGID_Y_EN: 0
; COMPUTE_PGM_RSRC2:TGID_Z_EN: 0
; COMPUTE_PGM_RSRC2:TIDIG_COMP_CNT: 0
	.section	.AMDGPU.gpr_maximums,"",@progbits
	.set amdgpu.max_num_vgpr, 0
	.set amdgpu.max_num_agpr, 0
	.set amdgpu.max_num_sgpr, 0
	.section	.AMDGPU.csdata,"",@progbits
	.type	__hip_cuid_238bc8bfa967bdfd,@object ; @__hip_cuid_238bc8bfa967bdfd
	.section	.bss,"aw",@nobits
	.globl	__hip_cuid_238bc8bfa967bdfd
__hip_cuid_238bc8bfa967bdfd:
	.byte	0                               ; 0x0
	.size	__hip_cuid_238bc8bfa967bdfd, 1

	.ident	"AMD clang version 22.0.0git (https://github.com/RadeonOpenCompute/llvm-project roc-7.2.4 26084 f58b06dce1f9c15707c5f808fd002e18c2accf7e)"
	.section	".note.GNU-stack","",@progbits
	.addrsig
	.addrsig_sym __hip_cuid_238bc8bfa967bdfd
	.amdgpu_metadata
---
amdhsa.kernels:
  - .args:
      - .actual_access:  write_only
        .address_space:  global
        .offset:         0
        .size:           8
        .value_kind:     global_buffer
      - .actual_access:  read_only
        .address_space:  global
        .offset:         8
        .size:           8
        .value_kind:     global_buffer
      - .offset:         16
        .size:           8
        .value_kind:     by_value
      - .actual_access:  read_only
        .address_space:  global
        .offset:         24
        .size:           8
        .value_kind:     global_buffer
      - .offset:         32
        .size:           4
        .value_kind:     by_value
      - .offset:         36
        .size:           4
        .value_kind:     by_value
      - .offset:         40
        .size:           4
        .value_kind:     by_value
      - .offset:         48
        .size:           4
        .value_kind:     hidden_block_count_x
      - .offset:         52
        .size:           4
        .value_kind:     hidden_block_count_y
      - .offset:         56
        .size:           4
        .value_kind:     hidden_block_count_z
      - .offset:         60
        .size:           2
        .value_kind:     hidden_group_size_x
      - .offset:         62
        .size:           2
        .value_kind:     hidden_group_size_y
      - .offset:         64
        .size:           2
        .value_kind:     hidden_group_size_z
      - .offset:         66
        .size:           2
        .value_kind:     hidden_remainder_x
      - .offset:         68
        .size:           2
        .value_kind:     hidden_remainder_y
      - .offset:         70
        .size:           2
        .value_kind:     hidden_remainder_z
      - .offset:         88
        .size:           8
        .value_kind:     hidden_global_offset_x
      - .offset:         96
        .size:           8
        .value_kind:     hidden_global_offset_y
      - .offset:         104
        .size:           8
        .value_kind:     hidden_global_offset_z
      - .offset:         112
        .size:           2
        .value_kind:     hidden_grid_dims
    .group_segment_fixed_size: 68
    .kernarg_segment_align: 8
    .kernarg_segment_size: 304
    .language:       OpenCL C
    .language_version:
      - 2
      - 0
    .max_flat_workgroup_size: 1024
    .name:           _ZN4vllm15rms_norm_kernelIfEEvPT_PKS1_lS4_fii
    .private_segment_fixed_size: 0
    .sgpr_count:     25
    .sgpr_spill_count: 0
    .symbol:         _ZN4vllm15rms_norm_kernelIfEEvPT_PKS1_lS4_fii.kd
    .uniform_work_group_size: 1
    .uses_dynamic_stack: false
    .vgpr_count:     14
    .vgpr_spill_count: 0
    .wavefront_size: 64
  - .args:
      - .actual_access:  write_only
        .address_space:  global
        .offset:         0
        .size:           8
        .value_kind:     global_buffer
      - .actual_access:  read_only
        .address_space:  global
        .offset:         8
        .size:           8
        .value_kind:     global_buffer
      - .offset:         16
        .size:           8
        .value_kind:     by_value
      - .actual_access:  read_only
        .address_space:  global
        .offset:         24
        .size:           8
        .value_kind:     global_buffer
      - .offset:         32
        .size:           4
        .value_kind:     by_value
      - .offset:         36
        .size:           4
        .value_kind:     by_value
      - .offset:         40
        .size:           4
        .value_kind:     by_value
      - .offset:         48
        .size:           4
        .value_kind:     hidden_block_count_x
      - .offset:         52
        .size:           4
        .value_kind:     hidden_block_count_y
      - .offset:         56
        .size:           4
        .value_kind:     hidden_block_count_z
      - .offset:         60
        .size:           2
        .value_kind:     hidden_group_size_x
      - .offset:         62
        .size:           2
        .value_kind:     hidden_group_size_y
      - .offset:         64
        .size:           2
        .value_kind:     hidden_group_size_z
      - .offset:         66
        .size:           2
        .value_kind:     hidden_remainder_x
      - .offset:         68
        .size:           2
        .value_kind:     hidden_remainder_y
      - .offset:         70
        .size:           2
        .value_kind:     hidden_remainder_z
      - .offset:         88
        .size:           8
        .value_kind:     hidden_global_offset_x
      - .offset:         96
        .size:           8
        .value_kind:     hidden_global_offset_y
      - .offset:         104
        .size:           8
        .value_kind:     hidden_global_offset_z
      - .offset:         112
        .size:           2
        .value_kind:     hidden_grid_dims
    .group_segment_fixed_size: 68
    .kernarg_segment_align: 8
    .kernarg_segment_size: 304
    .language:       OpenCL C
    .language_version:
      - 2
      - 0
    .max_flat_workgroup_size: 1024
    .name:           _ZN4vllm15rms_norm_kernelIN3c104HalfEEEvPT_PKS3_lS6_fii
    .private_segment_fixed_size: 0
    .sgpr_count:     25
    .sgpr_spill_count: 0
    .symbol:         _ZN4vllm15rms_norm_kernelIN3c104HalfEEEvPT_PKS3_lS6_fii.kd
    .uniform_work_group_size: 1
    .uses_dynamic_stack: false
    .vgpr_count:     14
    .vgpr_spill_count: 0
    .wavefront_size: 64
  - .args:
      - .actual_access:  write_only
        .address_space:  global
        .offset:         0
        .size:           8
        .value_kind:     global_buffer
      - .actual_access:  read_only
        .address_space:  global
        .offset:         8
        .size:           8
        .value_kind:     global_buffer
      - .offset:         16
        .size:           8
        .value_kind:     by_value
      - .actual_access:  read_only
        .address_space:  global
        .offset:         24
        .size:           8
        .value_kind:     global_buffer
      - .offset:         32
        .size:           4
        .value_kind:     by_value
      - .offset:         36
        .size:           4
        .value_kind:     by_value
      - .offset:         40
        .size:           4
        .value_kind:     by_value
      - .offset:         48
        .size:           4
        .value_kind:     hidden_block_count_x
      - .offset:         52
        .size:           4
        .value_kind:     hidden_block_count_y
      - .offset:         56
        .size:           4
        .value_kind:     hidden_block_count_z
      - .offset:         60
        .size:           2
        .value_kind:     hidden_group_size_x
      - .offset:         62
        .size:           2
        .value_kind:     hidden_group_size_y
      - .offset:         64
        .size:           2
        .value_kind:     hidden_group_size_z
      - .offset:         66
        .size:           2
        .value_kind:     hidden_remainder_x
      - .offset:         68
        .size:           2
        .value_kind:     hidden_remainder_y
      - .offset:         70
        .size:           2
        .value_kind:     hidden_remainder_z
      - .offset:         88
        .size:           8
        .value_kind:     hidden_global_offset_x
      - .offset:         96
        .size:           8
        .value_kind:     hidden_global_offset_y
      - .offset:         104
        .size:           8
        .value_kind:     hidden_global_offset_z
      - .offset:         112
        .size:           2
        .value_kind:     hidden_grid_dims
    .group_segment_fixed_size: 68
    .kernarg_segment_align: 8
    .kernarg_segment_size: 304
    .language:       OpenCL C
    .language_version:
      - 2
      - 0
    .max_flat_workgroup_size: 1024
    .name:           _ZN4vllm15rms_norm_kernelIN3c108BFloat16EEEvPT_PKS3_lS6_fii
    .private_segment_fixed_size: 0
    .sgpr_count:     25
    .sgpr_spill_count: 0
    .symbol:         _ZN4vllm15rms_norm_kernelIN3c108BFloat16EEEvPT_PKS3_lS6_fii.kd
    .uniform_work_group_size: 1
    .uses_dynamic_stack: false
    .vgpr_count:     16
    .vgpr_spill_count: 0
    .wavefront_size: 64
  - .args:
      - .address_space:  global
        .offset:         0
        .size:           8
        .value_kind:     global_buffer
      - .offset:         8
        .size:           8
        .value_kind:     by_value
      - .address_space:  global
        .offset:         16
        .size:           8
        .value_kind:     global_buffer
      - .actual_access:  read_only
        .address_space:  global
        .offset:         24
        .size:           8
        .value_kind:     global_buffer
      - .offset:         32
        .size:           4
        .value_kind:     by_value
      - .offset:         36
        .size:           4
        .value_kind:     by_value
      - .offset:         40
        .size:           4
        .value_kind:     by_value
      - .offset:         48
        .size:           4
        .value_kind:     hidden_block_count_x
      - .offset:         52
        .size:           4
        .value_kind:     hidden_block_count_y
      - .offset:         56
        .size:           4
        .value_kind:     hidden_block_count_z
      - .offset:         60
        .size:           2
        .value_kind:     hidden_group_size_x
      - .offset:         62
        .size:           2
        .value_kind:     hidden_group_size_y
      - .offset:         64
        .size:           2
        .value_kind:     hidden_group_size_z
      - .offset:         66
        .size:           2
        .value_kind:     hidden_remainder_x
      - .offset:         68
        .size:           2
        .value_kind:     hidden_remainder_y
      - .offset:         70
        .size:           2
        .value_kind:     hidden_remainder_z
      - .offset:         88
        .size:           8
        .value_kind:     hidden_global_offset_x
      - .offset:         96
        .size:           8
        .value_kind:     hidden_global_offset_y
      - .offset:         104
        .size:           8
        .value_kind:     hidden_global_offset_z
      - .offset:         112
        .size:           2
        .value_kind:     hidden_grid_dims
    .group_segment_fixed_size: 68
    .kernarg_segment_align: 8
    .kernarg_segment_size: 304
    .language:       OpenCL C
    .language_version:
      - 2
      - 0
    .max_flat_workgroup_size: 1024
    .name:           _ZN4vllm25fused_add_rms_norm_kernelIfLi8EEENSt9enable_ifIXooeqT0_Li0Entsr12_typeConvertIT_EE6existsEvE4typeEPS2_lS5_PKS2_fii
    .private_segment_fixed_size: 0
    .sgpr_count:     26
    .sgpr_spill_count: 0
    .symbol:         _ZN4vllm25fused_add_rms_norm_kernelIfLi8EEENSt9enable_ifIXooeqT0_Li0Entsr12_typeConvertIT_EE6existsEvE4typeEPS2_lS5_PKS2_fii.kd
    .uniform_work_group_size: 1
    .uses_dynamic_stack: false
    .vgpr_count:     17
    .vgpr_spill_count: 0
    .wavefront_size: 64
  - .args:
      - .address_space:  global
        .offset:         0
        .size:           8
        .value_kind:     global_buffer
      - .offset:         8
        .size:           8
        .value_kind:     by_value
      - .address_space:  global
        .offset:         16
        .size:           8
        .value_kind:     global_buffer
      - .actual_access:  read_only
        .address_space:  global
        .offset:         24
        .size:           8
        .value_kind:     global_buffer
      - .offset:         32
        .size:           4
        .value_kind:     by_value
      - .offset:         36
        .size:           4
        .value_kind:     by_value
      - .offset:         40
        .size:           4
        .value_kind:     by_value
      - .offset:         48
        .size:           4
        .value_kind:     hidden_block_count_x
      - .offset:         52
        .size:           4
        .value_kind:     hidden_block_count_y
      - .offset:         56
        .size:           4
        .value_kind:     hidden_block_count_z
      - .offset:         60
        .size:           2
        .value_kind:     hidden_group_size_x
      - .offset:         62
        .size:           2
        .value_kind:     hidden_group_size_y
      - .offset:         64
        .size:           2
        .value_kind:     hidden_group_size_z
      - .offset:         66
        .size:           2
        .value_kind:     hidden_remainder_x
      - .offset:         68
        .size:           2
        .value_kind:     hidden_remainder_y
      - .offset:         70
        .size:           2
        .value_kind:     hidden_remainder_z
      - .offset:         88
        .size:           8
        .value_kind:     hidden_global_offset_x
      - .offset:         96
        .size:           8
        .value_kind:     hidden_global_offset_y
      - .offset:         104
        .size:           8
        .value_kind:     hidden_global_offset_z
      - .offset:         112
        .size:           2
        .value_kind:     hidden_grid_dims
    .group_segment_fixed_size: 68
    .kernarg_segment_align: 8
    .kernarg_segment_size: 304
    .language:       OpenCL C
    .language_version:
      - 2
      - 0
    .max_flat_workgroup_size: 1024
    .name:           _ZN4vllm25fused_add_rms_norm_kernelIN3c104HalfELi8EEENSt9enable_ifIXaagtT0_Li0Esr12_typeConvertIT_EE6existsEvE4typeEPS4_lS7_PKS4_fii
    .private_segment_fixed_size: 0
    .sgpr_count:     26
    .sgpr_spill_count: 0
    .symbol:         _ZN4vllm25fused_add_rms_norm_kernelIN3c104HalfELi8EEENSt9enable_ifIXaagtT0_Li0Esr12_typeConvertIT_EE6existsEvE4typeEPS4_lS7_PKS4_fii.kd
    .uniform_work_group_size: 1
    .uses_dynamic_stack: false
    .vgpr_count:     20
    .vgpr_spill_count: 0
    .wavefront_size: 64
  - .args:
      - .address_space:  global
        .offset:         0
        .size:           8
        .value_kind:     global_buffer
      - .offset:         8
        .size:           8
        .value_kind:     by_value
      - .address_space:  global
        .offset:         16
        .size:           8
        .value_kind:     global_buffer
      - .actual_access:  read_only
        .address_space:  global
        .offset:         24
        .size:           8
        .value_kind:     global_buffer
      - .offset:         32
        .size:           4
        .value_kind:     by_value
      - .offset:         36
        .size:           4
        .value_kind:     by_value
      - .offset:         40
        .size:           4
        .value_kind:     by_value
      - .offset:         48
        .size:           4
        .value_kind:     hidden_block_count_x
      - .offset:         52
        .size:           4
        .value_kind:     hidden_block_count_y
      - .offset:         56
        .size:           4
        .value_kind:     hidden_block_count_z
      - .offset:         60
        .size:           2
        .value_kind:     hidden_group_size_x
      - .offset:         62
        .size:           2
        .value_kind:     hidden_group_size_y
      - .offset:         64
        .size:           2
        .value_kind:     hidden_group_size_z
      - .offset:         66
        .size:           2
        .value_kind:     hidden_remainder_x
      - .offset:         68
        .size:           2
        .value_kind:     hidden_remainder_y
      - .offset:         70
        .size:           2
        .value_kind:     hidden_remainder_z
      - .offset:         88
        .size:           8
        .value_kind:     hidden_global_offset_x
      - .offset:         96
        .size:           8
        .value_kind:     hidden_global_offset_y
      - .offset:         104
        .size:           8
        .value_kind:     hidden_global_offset_z
      - .offset:         112
        .size:           2
        .value_kind:     hidden_grid_dims
    .group_segment_fixed_size: 68
    .kernarg_segment_align: 8
    .kernarg_segment_size: 304
    .language:       OpenCL C
    .language_version:
      - 2
      - 0
    .max_flat_workgroup_size: 1024
    .name:           _ZN4vllm25fused_add_rms_norm_kernelIN3c108BFloat16ELi8EEENSt9enable_ifIXooeqT0_Li0Entsr12_typeConvertIT_EE6existsEvE4typeEPS4_lS7_PKS4_fii
    .private_segment_fixed_size: 0
    .sgpr_count:     26
    .sgpr_spill_count: 0
    .symbol:         _ZN4vllm25fused_add_rms_norm_kernelIN3c108BFloat16ELi8EEENSt9enable_ifIXooeqT0_Li0Entsr12_typeConvertIT_EE6existsEvE4typeEPS4_lS7_PKS4_fii.kd
    .uniform_work_group_size: 1
    .uses_dynamic_stack: false
    .vgpr_count:     19
    .vgpr_spill_count: 0
    .wavefront_size: 64
  - .args:
      - .address_space:  global
        .offset:         0
        .size:           8
        .value_kind:     global_buffer
      - .offset:         8
        .size:           8
        .value_kind:     by_value
      - .address_space:  global
        .offset:         16
        .size:           8
        .value_kind:     global_buffer
      - .actual_access:  read_only
        .address_space:  global
        .offset:         24
        .size:           8
        .value_kind:     global_buffer
      - .offset:         32
        .size:           4
        .value_kind:     by_value
      - .offset:         36
        .size:           4
        .value_kind:     by_value
      - .offset:         40
        .size:           4
        .value_kind:     by_value
      - .offset:         48
        .size:           4
        .value_kind:     hidden_block_count_x
      - .offset:         52
        .size:           4
        .value_kind:     hidden_block_count_y
      - .offset:         56
        .size:           4
        .value_kind:     hidden_block_count_z
      - .offset:         60
        .size:           2
        .value_kind:     hidden_group_size_x
      - .offset:         62
        .size:           2
        .value_kind:     hidden_group_size_y
      - .offset:         64
        .size:           2
        .value_kind:     hidden_group_size_z
      - .offset:         66
        .size:           2
        .value_kind:     hidden_remainder_x
      - .offset:         68
        .size:           2
        .value_kind:     hidden_remainder_y
      - .offset:         70
        .size:           2
        .value_kind:     hidden_remainder_z
      - .offset:         88
        .size:           8
        .value_kind:     hidden_global_offset_x
      - .offset:         96
        .size:           8
        .value_kind:     hidden_global_offset_y
      - .offset:         104
        .size:           8
        .value_kind:     hidden_global_offset_z
      - .offset:         112
        .size:           2
        .value_kind:     hidden_grid_dims
    .group_segment_fixed_size: 68
    .kernarg_segment_align: 8
    .kernarg_segment_size: 304
    .language:       OpenCL C
    .language_version:
      - 2
      - 0
    .max_flat_workgroup_size: 1024
    .name:           _ZN4vllm25fused_add_rms_norm_kernelIfLi0EEENSt9enable_ifIXooeqT0_Li0Entsr12_typeConvertIT_EE6existsEvE4typeEPS2_lS5_PKS2_fii
    .private_segment_fixed_size: 0
    .sgpr_count:     26
    .sgpr_spill_count: 0
    .symbol:         _ZN4vllm25fused_add_rms_norm_kernelIfLi0EEENSt9enable_ifIXooeqT0_Li0Entsr12_typeConvertIT_EE6existsEvE4typeEPS2_lS5_PKS2_fii.kd
    .uniform_work_group_size: 1
    .uses_dynamic_stack: false
    .vgpr_count:     17
    .vgpr_spill_count: 0
    .wavefront_size: 64
  - .args:
      - .address_space:  global
        .offset:         0
        .size:           8
        .value_kind:     global_buffer
      - .offset:         8
        .size:           8
        .value_kind:     by_value
      - .address_space:  global
        .offset:         16
        .size:           8
        .value_kind:     global_buffer
      - .actual_access:  read_only
        .address_space:  global
        .offset:         24
        .size:           8
        .value_kind:     global_buffer
      - .offset:         32
        .size:           4
        .value_kind:     by_value
      - .offset:         36
        .size:           4
        .value_kind:     by_value
      - .offset:         40
        .size:           4
        .value_kind:     by_value
      - .offset:         48
        .size:           4
        .value_kind:     hidden_block_count_x
      - .offset:         52
        .size:           4
        .value_kind:     hidden_block_count_y
      - .offset:         56
        .size:           4
        .value_kind:     hidden_block_count_z
      - .offset:         60
        .size:           2
        .value_kind:     hidden_group_size_x
      - .offset:         62
        .size:           2
        .value_kind:     hidden_group_size_y
      - .offset:         64
        .size:           2
        .value_kind:     hidden_group_size_z
      - .offset:         66
        .size:           2
        .value_kind:     hidden_remainder_x
      - .offset:         68
        .size:           2
        .value_kind:     hidden_remainder_y
      - .offset:         70
        .size:           2
        .value_kind:     hidden_remainder_z
      - .offset:         88
        .size:           8
        .value_kind:     hidden_global_offset_x
      - .offset:         96
        .size:           8
        .value_kind:     hidden_global_offset_y
      - .offset:         104
        .size:           8
        .value_kind:     hidden_global_offset_z
      - .offset:         112
        .size:           2
        .value_kind:     hidden_grid_dims
    .group_segment_fixed_size: 68
    .kernarg_segment_align: 8
    .kernarg_segment_size: 304
    .language:       OpenCL C
    .language_version:
      - 2
      - 0
    .max_flat_workgroup_size: 1024
    .name:           _ZN4vllm25fused_add_rms_norm_kernelIN3c104HalfELi0EEENSt9enable_ifIXooeqT0_Li0Entsr12_typeConvertIT_EE6existsEvE4typeEPS4_lS7_PKS4_fii
    .private_segment_fixed_size: 0
    .sgpr_count:     26
    .sgpr_spill_count: 0
    .symbol:         _ZN4vllm25fused_add_rms_norm_kernelIN3c104HalfELi0EEENSt9enable_ifIXooeqT0_Li0Entsr12_typeConvertIT_EE6existsEvE4typeEPS4_lS7_PKS4_fii.kd
    .uniform_work_group_size: 1
    .uses_dynamic_stack: false
    .vgpr_count:     17
    .vgpr_spill_count: 0
    .wavefront_size: 64
  - .args:
      - .address_space:  global
        .offset:         0
        .size:           8
        .value_kind:     global_buffer
      - .offset:         8
        .size:           8
        .value_kind:     by_value
      - .address_space:  global
        .offset:         16
        .size:           8
        .value_kind:     global_buffer
      - .actual_access:  read_only
        .address_space:  global
        .offset:         24
        .size:           8
        .value_kind:     global_buffer
      - .offset:         32
        .size:           4
        .value_kind:     by_value
      - .offset:         36
        .size:           4
        .value_kind:     by_value
      - .offset:         40
        .size:           4
        .value_kind:     by_value
      - .offset:         48
        .size:           4
        .value_kind:     hidden_block_count_x
      - .offset:         52
        .size:           4
        .value_kind:     hidden_block_count_y
      - .offset:         56
        .size:           4
        .value_kind:     hidden_block_count_z
      - .offset:         60
        .size:           2
        .value_kind:     hidden_group_size_x
      - .offset:         62
        .size:           2
        .value_kind:     hidden_group_size_y
      - .offset:         64
        .size:           2
        .value_kind:     hidden_group_size_z
      - .offset:         66
        .size:           2
        .value_kind:     hidden_remainder_x
      - .offset:         68
        .size:           2
        .value_kind:     hidden_remainder_y
      - .offset:         70
        .size:           2
        .value_kind:     hidden_remainder_z
      - .offset:         88
        .size:           8
        .value_kind:     hidden_global_offset_x
      - .offset:         96
        .size:           8
        .value_kind:     hidden_global_offset_y
      - .offset:         104
        .size:           8
        .value_kind:     hidden_global_offset_z
      - .offset:         112
        .size:           2
        .value_kind:     hidden_grid_dims
    .group_segment_fixed_size: 68
    .kernarg_segment_align: 8
    .kernarg_segment_size: 304
    .language:       OpenCL C
    .language_version:
      - 2
      - 0
    .max_flat_workgroup_size: 1024
    .name:           _ZN4vllm25fused_add_rms_norm_kernelIN3c108BFloat16ELi0EEENSt9enable_ifIXooeqT0_Li0Entsr12_typeConvertIT_EE6existsEvE4typeEPS4_lS7_PKS4_fii
    .private_segment_fixed_size: 0
    .sgpr_count:     26
    .sgpr_spill_count: 0
    .symbol:         _ZN4vllm25fused_add_rms_norm_kernelIN3c108BFloat16ELi0EEENSt9enable_ifIXooeqT0_Li0Entsr12_typeConvertIT_EE6existsEvE4typeEPS4_lS7_PKS4_fii.kd
    .uniform_work_group_size: 1
    .uses_dynamic_stack: false
    .vgpr_count:     19
    .vgpr_spill_count: 0
    .wavefront_size: 64
amdhsa.target:   amdgcn-amd-amdhsa--gfx906
amdhsa.version:
  - 1
  - 2
...

	.end_amdgpu_metadata
